;; amdgpu-corpus repo=ROCm/rocFFT kind=compiled arch=gfx950 opt=O3
	.text
	.amdgcn_target "amdgcn-amd-amdhsa--gfx950"
	.amdhsa_code_object_version 6
	.protected	fft_rtc_fwd_len1008_factors_2_2_2_2_3_3_7_wgs_56_tpt_56_halfLds_sp_op_CI_CI_sbrr_dirReg ; -- Begin function fft_rtc_fwd_len1008_factors_2_2_2_2_3_3_7_wgs_56_tpt_56_halfLds_sp_op_CI_CI_sbrr_dirReg
	.globl	fft_rtc_fwd_len1008_factors_2_2_2_2_3_3_7_wgs_56_tpt_56_halfLds_sp_op_CI_CI_sbrr_dirReg
	.p2align	8
	.type	fft_rtc_fwd_len1008_factors_2_2_2_2_3_3_7_wgs_56_tpt_56_halfLds_sp_op_CI_CI_sbrr_dirReg,@function
fft_rtc_fwd_len1008_factors_2_2_2_2_3_3_7_wgs_56_tpt_56_halfLds_sp_op_CI_CI_sbrr_dirReg: ; @fft_rtc_fwd_len1008_factors_2_2_2_2_3_3_7_wgs_56_tpt_56_halfLds_sp_op_CI_CI_sbrr_dirReg
; %bb.0:
	s_load_dwordx4 s[12:15], s[0:1], 0x18
	s_load_dwordx4 s[4:7], s[0:1], 0x0
	;; [unrolled: 1-line block ×3, first 2 shown]
	v_mul_u32_u24_e32 v1, 0x493, v0
	v_add_u32_sdwa v8, s2, v1 dst_sel:DWORD dst_unused:UNUSED_PAD src0_sel:DWORD src1_sel:WORD_1
	s_waitcnt lgkmcnt(0)
	s_load_dwordx2 s[18:19], s[12:13], 0x0
	s_load_dwordx2 s[16:17], s[14:15], 0x0
	v_mov_b32_e32 v4, 0
	v_cmp_lt_u64_e64 s[2:3], s[6:7], 2
	v_mov_b32_e32 v9, v4
	s_and_b64 vcc, exec, s[2:3]
	v_mov_b64_e32 v[6:7], 0
	s_cbranch_vccnz .LBB0_8
; %bb.1:
	s_load_dwordx2 s[2:3], s[0:1], 0x10
	s_add_u32 s20, s14, 8
	s_addc_u32 s21, s15, 0
	s_add_u32 s22, s12, 8
	s_addc_u32 s23, s13, 0
	s_waitcnt lgkmcnt(0)
	s_add_u32 s24, s2, 8
	v_mov_b64_e32 v[6:7], 0
	s_addc_u32 s25, s3, 0
	s_mov_b64 s[26:27], 1
	v_mov_b64_e32 v[12:13], v[6:7]
.LBB0_2:                                ; =>This Inner Loop Header: Depth=1
	s_load_dwordx2 s[28:29], s[24:25], 0x0
                                        ; implicit-def: $vgpr2_vgpr3
	s_waitcnt lgkmcnt(0)
	v_or_b32_e32 v5, s29, v9
	v_cmp_ne_u64_e32 vcc, 0, v[4:5]
	s_and_saveexec_b64 s[2:3], vcc
	s_xor_b64 s[30:31], exec, s[2:3]
	s_cbranch_execz .LBB0_4
; %bb.3:                                ;   in Loop: Header=BB0_2 Depth=1
	v_cvt_f32_u32_e32 v1, s28
	v_cvt_f32_u32_e32 v2, s29
	s_sub_u32 s2, 0, s28
	s_subb_u32 s3, 0, s29
	v_fmac_f32_e32 v1, 0x4f800000, v2
	v_rcp_f32_e32 v1, v1
	s_nop 0
	v_mul_f32_e32 v1, 0x5f7ffffc, v1
	v_mul_f32_e32 v2, 0x2f800000, v1
	v_trunc_f32_e32 v2, v2
	v_fmac_f32_e32 v1, 0xcf800000, v2
	v_cvt_u32_f32_e32 v5, v2
	v_cvt_u32_f32_e32 v1, v1
	v_mul_lo_u32 v2, s2, v5
	v_mul_hi_u32 v10, s2, v1
	v_mul_lo_u32 v3, s3, v1
	v_add_u32_e32 v10, v10, v2
	v_mul_lo_u32 v14, s2, v1
	v_add_u32_e32 v15, v10, v3
	v_mul_hi_u32 v2, v1, v14
	v_mul_hi_u32 v11, v1, v15
	v_mul_lo_u32 v10, v1, v15
	v_mov_b32_e32 v3, v4
	v_lshl_add_u64 v[2:3], v[2:3], 0, v[10:11]
	v_mul_hi_u32 v11, v5, v14
	v_mul_lo_u32 v14, v5, v14
	v_add_co_u32_e32 v2, vcc, v2, v14
	v_mul_hi_u32 v10, v5, v15
	s_nop 0
	v_addc_co_u32_e32 v2, vcc, v3, v11, vcc
	v_mov_b32_e32 v3, v4
	s_nop 0
	v_addc_co_u32_e32 v11, vcc, 0, v10, vcc
	v_mul_lo_u32 v10, v5, v15
	v_lshl_add_u64 v[2:3], v[2:3], 0, v[10:11]
	v_add_co_u32_e32 v1, vcc, v1, v2
	v_mul_lo_u32 v10, s2, v1
	s_nop 0
	v_addc_co_u32_e32 v5, vcc, v5, v3, vcc
	v_mul_lo_u32 v2, s2, v5
	v_mul_hi_u32 v3, s2, v1
	v_add_u32_e32 v2, v3, v2
	v_mul_lo_u32 v3, s3, v1
	v_add_u32_e32 v14, v2, v3
	v_mul_hi_u32 v16, v5, v10
	v_mul_lo_u32 v17, v5, v10
	v_mul_hi_u32 v3, v1, v14
	v_mul_lo_u32 v2, v1, v14
	v_mul_hi_u32 v10, v1, v10
	v_mov_b32_e32 v11, v4
	v_lshl_add_u64 v[2:3], v[10:11], 0, v[2:3]
	v_add_co_u32_e32 v2, vcc, v2, v17
	v_mul_hi_u32 v15, v5, v14
	s_nop 0
	v_addc_co_u32_e32 v2, vcc, v3, v16, vcc
	v_mul_lo_u32 v10, v5, v14
	s_nop 0
	v_addc_co_u32_e32 v11, vcc, 0, v15, vcc
	v_mov_b32_e32 v3, v4
	v_lshl_add_u64 v[2:3], v[2:3], 0, v[10:11]
	v_add_co_u32_e32 v1, vcc, v1, v2
	v_mul_hi_u32 v10, v8, v1
	s_nop 0
	v_addc_co_u32_e32 v5, vcc, v5, v3, vcc
	v_mad_u64_u32 v[2:3], s[2:3], v8, v5, 0
	v_mov_b32_e32 v11, v4
	v_lshl_add_u64 v[2:3], v[10:11], 0, v[2:3]
	v_mad_u64_u32 v[14:15], s[2:3], v9, v1, 0
	v_add_co_u32_e32 v1, vcc, v2, v14
	v_mad_u64_u32 v[10:11], s[2:3], v9, v5, 0
	s_nop 0
	v_addc_co_u32_e32 v2, vcc, v3, v15, vcc
	v_mov_b32_e32 v3, v4
	s_nop 0
	v_addc_co_u32_e32 v11, vcc, 0, v11, vcc
	v_lshl_add_u64 v[2:3], v[2:3], 0, v[10:11]
	v_mul_lo_u32 v1, s29, v2
	v_mul_lo_u32 v5, s28, v3
	v_mad_u64_u32 v[10:11], s[2:3], s28, v2, 0
	v_add3_u32 v1, v11, v5, v1
	v_sub_u32_e32 v5, v9, v1
	v_mov_b32_e32 v11, s29
	v_sub_co_u32_e32 v16, vcc, v8, v10
	v_lshl_add_u64 v[14:15], v[2:3], 0, 1
	s_nop 0
	v_subb_co_u32_e64 v5, s[2:3], v5, v11, vcc
	v_subrev_co_u32_e64 v10, s[2:3], s28, v16
	v_subb_co_u32_e32 v1, vcc, v9, v1, vcc
	s_nop 0
	v_subbrev_co_u32_e64 v5, s[2:3], 0, v5, s[2:3]
	v_cmp_le_u32_e64 s[2:3], s29, v5
	v_cmp_le_u32_e32 vcc, s29, v1
	s_nop 0
	v_cndmask_b32_e64 v11, 0, -1, s[2:3]
	v_cmp_le_u32_e64 s[2:3], s28, v10
	s_nop 1
	v_cndmask_b32_e64 v10, 0, -1, s[2:3]
	v_cmp_eq_u32_e64 s[2:3], s29, v5
	s_nop 1
	v_cndmask_b32_e64 v5, v11, v10, s[2:3]
	v_lshl_add_u64 v[10:11], v[2:3], 0, 2
	v_cmp_ne_u32_e64 s[2:3], 0, v5
	s_nop 1
	v_cndmask_b32_e64 v5, v15, v11, s[2:3]
	v_cndmask_b32_e64 v11, 0, -1, vcc
	v_cmp_le_u32_e32 vcc, s28, v16
	s_nop 1
	v_cndmask_b32_e64 v15, 0, -1, vcc
	v_cmp_eq_u32_e32 vcc, s29, v1
	s_nop 1
	v_cndmask_b32_e32 v1, v11, v15, vcc
	v_cmp_ne_u32_e32 vcc, 0, v1
	v_cndmask_b32_e64 v1, v14, v10, s[2:3]
	s_nop 0
	v_cndmask_b32_e32 v3, v3, v5, vcc
	v_cndmask_b32_e32 v2, v2, v1, vcc
.LBB0_4:                                ;   in Loop: Header=BB0_2 Depth=1
	s_andn2_saveexec_b64 s[2:3], s[30:31]
	s_cbranch_execz .LBB0_6
; %bb.5:                                ;   in Loop: Header=BB0_2 Depth=1
	v_cvt_f32_u32_e32 v1, s28
	s_sub_i32 s30, 0, s28
	v_rcp_iflag_f32_e32 v1, v1
	s_nop 0
	v_mul_f32_e32 v1, 0x4f7ffffe, v1
	v_cvt_u32_f32_e32 v1, v1
	v_mul_lo_u32 v2, s30, v1
	v_mul_hi_u32 v2, v1, v2
	v_add_u32_e32 v1, v1, v2
	v_mul_hi_u32 v1, v8, v1
	v_mul_lo_u32 v2, v1, s28
	v_sub_u32_e32 v2, v8, v2
	v_add_u32_e32 v3, 1, v1
	v_subrev_u32_e32 v5, s28, v2
	v_cmp_le_u32_e32 vcc, s28, v2
	s_nop 1
	v_cndmask_b32_e32 v2, v2, v5, vcc
	v_cndmask_b32_e32 v1, v1, v3, vcc
	v_add_u32_e32 v3, 1, v1
	v_cmp_le_u32_e32 vcc, s28, v2
	s_nop 1
	v_cndmask_b32_e32 v2, v1, v3, vcc
	v_mov_b32_e32 v3, v4
.LBB0_6:                                ;   in Loop: Header=BB0_2 Depth=1
	s_or_b64 exec, exec, s[2:3]
	v_mad_u64_u32 v[10:11], s[2:3], v2, s28, 0
	s_load_dwordx2 s[2:3], s[22:23], 0x0
	v_mul_lo_u32 v1, v3, s28
	v_mul_lo_u32 v5, v2, s29
	s_load_dwordx2 s[28:29], s[20:21], 0x0
	s_add_u32 s26, s26, 1
	v_add3_u32 v1, v11, v5, v1
	v_sub_co_u32_e32 v5, vcc, v8, v10
	s_addc_u32 s27, s27, 0
	s_nop 0
	v_subb_co_u32_e32 v1, vcc, v9, v1, vcc
	s_add_u32 s20, s20, 8
	s_waitcnt lgkmcnt(0)
	v_mul_lo_u32 v8, s2, v1
	v_mul_lo_u32 v9, s3, v5
	v_mad_u64_u32 v[6:7], s[2:3], s2, v5, v[6:7]
	s_addc_u32 s21, s21, 0
	v_add3_u32 v7, v9, v7, v8
	v_mul_lo_u32 v1, s28, v1
	v_mul_lo_u32 v8, s29, v5
	v_mad_u64_u32 v[12:13], s[2:3], s28, v5, v[12:13]
	s_add_u32 s22, s22, 8
	v_add3_u32 v13, v8, v13, v1
	s_addc_u32 s23, s23, 0
	v_mov_b64_e32 v[8:9], s[6:7]
	s_add_u32 s24, s24, 8
	v_cmp_ge_u64_e32 vcc, s[26:27], v[8:9]
	s_addc_u32 s25, s25, 0
	s_cbranch_vccnz .LBB0_9
; %bb.7:                                ;   in Loop: Header=BB0_2 Depth=1
	v_mov_b64_e32 v[8:9], v[2:3]
	s_branch .LBB0_2
.LBB0_8:
	v_mov_b64_e32 v[12:13], v[6:7]
	v_mov_b64_e32 v[2:3], v[8:9]
.LBB0_9:
	s_load_dwordx2 s[0:1], s[0:1], 0x28
	s_lshl_b64 s[6:7], s[6:7], 3
	s_add_u32 s2, s14, s6
	s_addc_u32 s3, s15, s7
                                        ; implicit-def: $sgpr14_sgpr15
                                        ; implicit-def: $vgpr60
                                        ; implicit-def: $vgpr50
                                        ; implicit-def: $vgpr61
                                        ; implicit-def: $vgpr44
                                        ; implicit-def: $vgpr45
                                        ; implicit-def: $vgpr1
                                        ; implicit-def: $vgpr46
                                        ; implicit-def: $vgpr47
                                        ; implicit-def: $vgpr48
	s_waitcnt lgkmcnt(0)
	v_cmp_gt_u64_e32 vcc, s[0:1], v[2:3]
	v_cmp_le_u64_e64 s[0:1], s[0:1], v[2:3]
	s_and_saveexec_b64 s[20:21], s[0:1]
	s_xor_b64 s[0:1], exec, s[20:21]
	s_cbranch_execz .LBB0_11
; %bb.10:
	s_mov_b32 s14, 0x4924925
	v_mul_hi_u32 v1, v0, s14
	v_mul_u32_u24_e32 v1, 56, v1
	v_sub_u32_e32 v60, v0, v1
	v_add_u32_e32 v50, 56, v60
	v_add_u32_e32 v61, 0x70, v60
	;; [unrolled: 1-line block ×7, first 2 shown]
	v_or_b32_e32 v48, 0x1c0, v60
	s_mov_b64 s[14:15], 0
                                        ; implicit-def: $vgpr0
                                        ; implicit-def: $vgpr6_vgpr7
.LBB0_11:
	s_or_saveexec_b64 s[0:1], s[0:1]
	v_mov_b64_e32 v[32:33], s[14:15]
	v_mov_b64_e32 v[4:5], s[14:15]
	;; [unrolled: 1-line block ×9, first 2 shown]
                                        ; implicit-def: $vgpr42
                                        ; implicit-def: $vgpr16
                                        ; implicit-def: $vgpr24
                                        ; implicit-def: $vgpr26
                                        ; implicit-def: $vgpr34
                                        ; implicit-def: $vgpr40
                                        ; implicit-def: $vgpr36
                                        ; implicit-def: $vgpr18
                                        ; implicit-def: $vgpr14
	s_xor_b64 exec, exec, s[0:1]
	s_cbranch_execz .LBB0_13
; %bb.12:
	s_add_u32 s6, s12, s6
	s_addc_u32 s7, s13, s7
	s_load_dwordx2 s[6:7], s[6:7], 0x0
	s_mov_b32 s12, 0x4924925
	s_waitcnt lgkmcnt(0)
	v_mul_lo_u32 v1, s7, v2
	v_mul_lo_u32 v8, s6, v3
	v_mad_u64_u32 v[4:5], s[6:7], s6, v2, 0
	v_add3_u32 v5, v5, v8, v1
	v_mul_hi_u32 v1, v0, s12
	v_mul_u32_u24_e32 v1, 56, v1
	v_sub_u32_e32 v60, v0, v1
	v_mad_u64_u32 v[0:1], s[6:7], s18, v60, 0
	v_mov_b32_e32 v8, v1
	v_mad_u64_u32 v[8:9], s[6:7], s19, v60, v[8:9]
	v_lshl_add_u64 v[4:5], v[4:5], 3, s[8:9]
	v_add_u32_e32 v9, 0x1f8, v60
	v_lshl_add_u64 v[6:7], v[6:7], 3, v[4:5]
	v_mad_u64_u32 v[4:5], s[6:7], s18, v9, 0
	v_mov_b32_e32 v1, v8
	v_mov_b32_e32 v8, v5
	v_mad_u64_u32 v[8:9], s[6:7], s19, v9, v[8:9]
	v_mov_b32_e32 v5, v8
	v_add_u32_e32 v50, 56, v60
	v_lshl_add_u64 v[8:9], v[4:5], 3, v[6:7]
	v_mad_u64_u32 v[4:5], s[6:7], s18, v50, 0
	v_mov_b32_e32 v10, v5
	v_mad_u64_u32 v[10:11], s[6:7], s19, v50, v[10:11]
	v_mov_b32_e32 v5, v10
	v_add_u32_e32 v15, 0x230, v60
	v_lshl_add_u64 v[10:11], v[4:5], 3, v[6:7]
	v_mad_u64_u32 v[4:5], s[6:7], s18, v15, 0
	v_mov_b32_e32 v14, v5
	v_mad_u64_u32 v[14:15], s[6:7], s19, v15, v[14:15]
	v_lshl_add_u64 v[0:1], v[0:1], 3, v[6:7]
	v_mov_b32_e32 v5, v14
	v_add_u32_e32 v61, 0x70, v60
	v_lshl_add_u64 v[16:17], v[4:5], 3, v[6:7]
	global_load_dwordx2 v[32:33], v[0:1], off
	global_load_dwordx2 v[42:43], v[8:9], off
	;; [unrolled: 1-line block ×4, first 2 shown]
	v_mad_u64_u32 v[0:1], s[6:7], s18, v61, 0
	v_mov_b32_e32 v8, v1
	v_mad_u64_u32 v[8:9], s[6:7], s19, v61, v[8:9]
	v_add_u32_e32 v11, 0x268, v60
	v_mov_b32_e32 v1, v8
	v_mad_u64_u32 v[8:9], s[6:7], s18, v11, 0
	v_mov_b32_e32 v10, v9
	v_mad_u64_u32 v[10:11], s[6:7], s19, v11, v[10:11]
	v_mov_b32_e32 v9, v10
	v_add_u32_e32 v44, 0xa8, v60
	v_lshl_add_u64 v[20:21], v[8:9], 3, v[6:7]
	v_mad_u64_u32 v[8:9], s[6:7], s18, v44, 0
	v_mov_b32_e32 v10, v9
	v_mad_u64_u32 v[10:11], s[6:7], s19, v44, v[10:11]
	v_mov_b32_e32 v9, v10
	v_add_u32_e32 v11, 0x2a0, v60
	v_lshl_add_u64 v[22:23], v[8:9], 3, v[6:7]
	v_mad_u64_u32 v[8:9], s[6:7], s18, v11, 0
	v_mov_b32_e32 v10, v9
	v_mad_u64_u32 v[10:11], s[6:7], s19, v11, v[10:11]
	v_lshl_add_u64 v[0:1], v[0:1], 3, v[6:7]
	v_mov_b32_e32 v9, v10
	v_add_u32_e32 v45, 0xe0, v60
	v_lshl_add_u64 v[24:25], v[8:9], 3, v[6:7]
	global_load_dwordx2 v[8:9], v[0:1], off
	global_load_dwordx2 v[18:19], v[20:21], off
	;; [unrolled: 1-line block ×4, first 2 shown]
	v_mad_u64_u32 v[0:1], s[6:7], s18, v45, 0
	v_mov_b32_e32 v20, v1
	v_mad_u64_u32 v[20:21], s[6:7], s19, v45, v[20:21]
	v_mov_b32_e32 v1, v20
	v_add_u32_e32 v21, 0x2d8, v60
	v_lshl_add_u64 v[28:29], v[0:1], 3, v[6:7]
	v_mad_u64_u32 v[0:1], s[6:7], s18, v21, 0
	v_mov_b32_e32 v20, v1
	v_mad_u64_u32 v[20:21], s[6:7], s19, v21, v[20:21]
	v_mov_b32_e32 v1, v20
	v_lshl_add_u64 v[30:31], v[0:1], 3, v[6:7]
	v_add_u32_e32 v1, 0x118, v60
	v_mad_u64_u32 v[20:21], s[6:7], s18, v1, 0
	v_mov_b32_e32 v0, v21
	v_mad_u64_u32 v[22:23], s[6:7], s19, v1, v[0:1]
	v_mov_b32_e32 v21, v22
	v_add_u32_e32 v22, 0x310, v60
	v_lshl_add_u64 v[34:35], v[20:21], 3, v[6:7]
	v_mad_u64_u32 v[20:21], s[6:7], s18, v22, 0
	v_mov_b32_e32 v0, v21
	v_mad_u64_u32 v[22:23], s[6:7], s19, v22, v[0:1]
	v_mov_b32_e32 v21, v22
	v_add_u32_e32 v46, 0x150, v60
	v_lshl_add_u64 v[36:37], v[20:21], 3, v[6:7]
	global_load_dwordx2 v[20:21], v[28:29], off
	global_load_dwordx2 v[24:25], v[30:31], off
	;; [unrolled: 1-line block ×4, first 2 shown]
	v_mad_u64_u32 v[28:29], s[6:7], s18, v46, 0
	v_mov_b32_e32 v0, v29
	v_mad_u64_u32 v[30:31], s[6:7], s19, v46, v[0:1]
	v_mov_b32_e32 v29, v30
	v_add_u32_e32 v30, 0x348, v60
	v_lshl_add_u64 v[38:39], v[28:29], 3, v[6:7]
	v_mad_u64_u32 v[28:29], s[6:7], s18, v30, 0
	v_mov_b32_e32 v0, v29
	v_mad_u64_u32 v[30:31], s[6:7], s19, v30, v[0:1]
	v_mov_b32_e32 v29, v30
	v_add_u32_e32 v47, 0x188, v60
	v_lshl_add_u64 v[40:41], v[28:29], 3, v[6:7]
	v_mad_u64_u32 v[28:29], s[6:7], s18, v47, 0
	v_mov_b32_e32 v0, v29
	v_mad_u64_u32 v[30:31], s[6:7], s19, v47, v[0:1]
	v_mov_b32_e32 v29, v30
	v_or_b32_e32 v30, 0x380, v60
	v_lshl_add_u64 v[48:49], v[28:29], 3, v[6:7]
	v_mad_u64_u32 v[28:29], s[6:7], s18, v30, 0
	v_mov_b32_e32 v0, v29
	v_mad_u64_u32 v[30:31], s[6:7], s19, v30, v[0:1]
	v_mov_b32_e32 v29, v30
	v_lshl_add_u64 v[52:53], v[28:29], 3, v[6:7]
	global_load_dwordx2 v[28:29], v[38:39], off
	global_load_dwordx2 v[36:37], v[40:41], off
	;; [unrolled: 1-line block ×4, first 2 shown]
	v_or_b32_e32 v48, 0x1c0, v60
	v_mad_u64_u32 v[38:39], s[6:7], s18, v48, 0
	v_mov_b32_e32 v0, v39
	v_mad_u64_u32 v[40:41], s[6:7], s19, v48, v[0:1]
	v_mov_b32_e32 v39, v40
	v_add_u32_e32 v40, 0x3b8, v60
	v_lshl_add_u64 v[52:53], v[38:39], 3, v[6:7]
	v_mad_u64_u32 v[38:39], s[6:7], s18, v40, 0
	v_mov_b32_e32 v0, v39
	v_mad_u64_u32 v[40:41], s[6:7], s19, v40, v[0:1]
	v_mov_b32_e32 v39, v40
	v_lshl_add_u64 v[6:7], v[38:39], 3, v[6:7]
	global_load_dwordx2 v[38:39], v[52:53], off
	global_load_dwordx2 v[40:41], v[6:7], off
.LBB0_13:
	s_or_b64 exec, exec, s[0:1]
	s_waitcnt vmcnt(16)
	v_sub_f32_e32 v53, v33, v43
	v_sub_f32_e32 v7, v32, v42
	v_fma_f32 v52, v33, 2.0, -v53
	s_waitcnt vmcnt(14)
	v_sub_f32_e32 v33, v4, v14
	v_fma_f32 v6, v32, 2.0, -v7
	v_fma_f32 v32, v4, 2.0, -v33
	v_lshl_add_u32 v14, v60, 3, 0
	v_lshlrev_b32_e32 v4, 2, v60
	s_waitcnt vmcnt(12)
	v_sub_f32_e32 v43, v8, v18
	s_waitcnt vmcnt(8)
	v_sub_f32_e32 v57, v20, v24
	;; [unrolled: 2-line block ×4, first 2 shown]
	ds_write_b64 v14, v[6:7]
	v_lshl_add_u32 v7, v44, 3, 0
	v_sub_u32_e32 v24, v14, v4
	v_lshlrev_b32_e32 v4, 2, v44
	v_fma_f32 v42, v8, 2.0, -v43
	v_fma_f32 v62, v28, 2.0, -v63
	v_sub_f32_e32 v65, v30, v34
	v_fma_f32 v66, v38, 2.0, -v67
	v_lshl_add_u32 v28, v50, 3, 0
	v_lshl_add_u32 v0, v61, 3, 0
	;; [unrolled: 1-line block ×3, first 2 shown]
	v_sub_u32_e32 v34, v7, v4
	v_lshlrev_b32_e32 v4, 2, v45
	v_sub_f32_e32 v55, v10, v16
	v_sub_f32_e32 v59, v22, v26
	ds_write_b64 v28, v[32:33]
	ds_write_b64 v0, v[42:43]
	v_lshl_add_u32 v43, v1, 3, 0
	v_sub_u32_e32 v36, v38, v4
	v_lshlrev_b32_e32 v4, 2, v1
	v_fma_f32 v54, v10, 2.0, -v55
	v_fma_f32 v56, v20, 2.0, -v57
	v_fma_f32 v58, v22, 2.0, -v59
	v_fma_f32 v64, v30, 2.0, -v65
	v_lshl_add_u32 v49, v46, 3, 0
	v_lshl_add_u32 v51, v47, 3, 0
	v_lshlrev_b32_e32 v20, 2, v50
	v_sub_u32_e32 v8, v43, v4
	v_lshlrev_b32_e32 v4, 2, v46
	ds_write_b64 v7, v[54:55]
	ds_write_b64 v38, v[56:57]
	;; [unrolled: 1-line block ×5, first 2 shown]
	v_lshl_add_u32 v72, v48, 3, 0
	v_sub_u32_e32 v30, v28, v20
	v_lshlrev_b32_e32 v26, 2, v61
	v_sub_u32_e32 v10, v49, v4
	v_lshlrev_b32_e32 v4, 2, v47
	v_lshlrev_b32_e32 v6, 2, v48
	v_sub_f32_e32 v15, v5, v15
	v_sub_f32_e32 v65, v11, v17
	;; [unrolled: 1-line block ×3, first 2 shown]
	v_and_b32_e32 v17, 1, v60
	s_load_dwordx2 s[6:7], s[2:3], 0x0
	ds_write_b64 v72, v[66:67]
	s_waitcnt lgkmcnt(0)
	; wave barrier
	s_waitcnt lgkmcnt(0)
	v_add_u32_e32 v32, 0x600, v24
	v_sub_u32_e32 v18, v0, v26
	v_add_u32_e32 v33, 0x800, v24
	v_add_u32_e32 v16, 0xa00, v24
	;; [unrolled: 1-line block ×3, first 2 shown]
	v_sub_u32_e32 v4, v51, v4
	v_sub_u32_e32 v6, v72, v6
	ds_read_b32 v73, v30
	ds_read_b32 v74, v18
	;; [unrolled: 1-line block ×9, first 2 shown]
	ds_read_b32 v82, v24 offset:3808
	ds_read2_b32 v[54:55], v32 offset0:120 offset1:176
	ds_read2_b32 v[56:57], v33 offset0:104 offset1:160
	;; [unrolled: 1-line block ×4, first 2 shown]
	s_waitcnt lgkmcnt(0)
	; wave barrier
	s_waitcnt lgkmcnt(0)
	ds_write_b64 v14, v[52:53]
	v_fma_f32 v14, v5, 2.0, -v15
	v_sub_f32_e32 v53, v9, v19
	v_sub_f32_e32 v67, v21, v25
	v_fma_f32 v68, v23, 2.0, -v69
	v_sub_f32_e32 v23, v29, v37
	v_sub_f32_e32 v71, v31, v35
	;; [unrolled: 1-line block ×3, first 2 shown]
	v_lshlrev_b32_e32 v5, 3, v17
	v_fma_f32 v52, v9, 2.0, -v53
	v_fma_f32 v64, v11, 2.0, -v65
	;; [unrolled: 1-line block ×6, first 2 shown]
	ds_write_b64 v28, v[14:15]
	ds_write_b64 v0, v[52:53]
	ds_write_b64 v7, v[64:65]
	ds_write_b64 v38, v[66:67]
	ds_write_b64 v43, v[68:69]
	ds_write_b64 v49, v[22:23]
	ds_write_b64 v51, v[70:71]
	ds_write_b64 v72, v[40:41]
	s_waitcnt lgkmcnt(0)
	; wave barrier
	s_waitcnt lgkmcnt(0)
	global_load_dwordx2 v[14:15], v5, s[4:5]
	ds_read2_b32 v[22:23], v32 offset0:120 offset1:176
	ds_read2_b32 v[38:39], v33 offset0:104 offset1:160
	;; [unrolled: 1-line block ×4, first 2 shown]
	ds_read_b32 v19, v24
	ds_read_b32 v21, v24 offset:3808
	v_lshlrev_b32_e32 v11, 1, v60
	s_movk_i32 s0, 0x7c
	v_lshlrev_b32_e32 v9, 1, v50
	v_lshlrev_b32_e32 v7, 1, v61
	;; [unrolled: 1-line block ×5, first 2 shown]
	s_movk_i32 s1, 0x2fc
	v_lshlrev_b32_e32 v67, 1, v46
	v_lshlrev_b32_e32 v68, 1, v47
	;; [unrolled: 1-line block ×3, first 2 shown]
	s_mov_b32 s2, 0xaaab
	s_waitcnt vmcnt(0)
	v_mul_f32_e32 v27, v54, v15
	v_mul_f32_e32 v29, v55, v15
	;; [unrolled: 1-line block ×5, first 2 shown]
	s_waitcnt lgkmcnt(5)
	v_mul_f32_e32 v25, v22, v15
	v_fmac_f32_e32 v27, v22, v14
	v_mul_f32_e32 v22, v23, v15
	v_fmac_f32_e32 v29, v23, v14
	s_waitcnt lgkmcnt(4)
	v_mul_f32_e32 v23, v38, v15
	v_fmac_f32_e32 v31, v38, v14
	v_mul_f32_e32 v37, v57, v15
	s_waitcnt lgkmcnt(3)
	v_mul_f32_e32 v38, v40, v15
	v_fmac_f32_e32 v43, v40, v14
	v_mul_f32_e32 v49, v59, v15
	;; [unrolled: 4-line block ×3, first 2 shown]
	v_fma_f32 v25, v54, v14, -v25
	v_mul_f32_e32 v35, v39, v15
	v_fmac_f32_e32 v37, v39, v14
	v_mul_f32_e32 v39, v41, v15
	v_fmac_f32_e32 v49, v41, v14
	;; [unrolled: 2-line block ×3, first 2 shown]
	s_waitcnt lgkmcnt(0)
	v_mul_f32_e32 v53, v21, v15
	v_mul_f32_e32 v54, v82, v15
	v_fma_f32 v22, v55, v14, -v22
	v_fma_f32 v23, v56, v14, -v23
	;; [unrolled: 1-line block ×8, first 2 shown]
	v_fmac_f32_e32 v54, v21, v14
	v_sub_f32_e32 v14, v81, v25
	v_and_or_b32 v25, v11, s0, v17
	v_fma_f32 v15, v81, 2.0, -v14
	v_lshl_add_u32 v25, v25, 2, 0
	s_movk_i32 s0, 0xfc
	ds_read_b32 v21, v30
	ds_read_b32 v55, v18
	;; [unrolled: 1-line block ×8, first 2 shown]
	s_waitcnt lgkmcnt(0)
	; wave barrier
	s_waitcnt lgkmcnt(0)
	ds_write2_b32 v25, v15, v14 offset1:2
	v_sub_f32_e32 v14, v73, v22
	v_and_or_b32 v22, v9, s0, v17
	v_fma_f32 v15, v73, 2.0, -v14
	v_lshl_add_u32 v65, v22, 2, 0
	s_movk_i32 s0, 0x1fc
	ds_write2_b32 v65, v15, v14 offset1:2
	v_sub_f32_e32 v14, v74, v23
	v_and_or_b32 v71, v7, s0, v17
	v_fma_f32 v15, v74, 2.0, -v14
	v_lshl_add_u32 v71, v71, 2, 0
	ds_write2_b32 v71, v15, v14 offset1:2
	v_and_or_b32 v14, v5, s0, v17
	s_movk_i32 s0, 0x3fc
	v_sub_f32_e32 v22, v75, v35
	v_sub_f32_e32 v35, v76, v38
	v_lshl_add_u32 v72, v14, 2, 0
	v_and_or_b32 v14, v64, s0, v17
	v_fma_f32 v23, v75, 2.0, -v22
	v_fma_f32 v38, v76, 2.0, -v35
	v_sub_f32_e32 v39, v77, v39
	v_lshl_add_u32 v73, v14, 2, 0
	v_and_or_b32 v14, v66, s1, v17
	v_fma_f32 v46, v77, 2.0, -v39
	v_sub_f32_e32 v40, v78, v40
	ds_write2_b32 v72, v23, v22 offset1:2
	ds_write2_b32 v73, v38, v35 offset1:2
	v_lshl_add_u32 v35, v14, 2, 0
	v_and_or_b32 v14, v67, s0, v17
	v_fma_f32 v47, v78, 2.0, -v40
	ds_write2_b32 v35, v46, v39 offset1:2
	v_lshl_add_u32 v46, v14, 2, 0
	v_and_or_b32 v14, v68, s0, v17
	v_sub_f32_e32 v27, v19, v27
	v_sub_f32_e32 v41, v79, v41
	;; [unrolled: 1-line block ×3, first 2 shown]
	ds_write2_b32 v46, v47, v40 offset1:2
	v_lshl_add_u32 v47, v14, 2, 0
	v_and_or_b32 v14, v69, s0, v17
	v_fma_f32 v19, v19, 2.0, -v27
	v_fma_f32 v48, v79, 2.0, -v41
	;; [unrolled: 1-line block ×3, first 2 shown]
	v_lshl_add_u32 v17, v14, 2, 0
	ds_write2_b32 v47, v48, v41 offset1:2
	ds_write2_b32 v17, v70, v53 offset1:2
	s_waitcnt lgkmcnt(0)
	; wave barrier
	s_waitcnt lgkmcnt(0)
	ds_read_b32 v70, v30
	ds_read_b32 v74, v18
	;; [unrolled: 1-line block ×9, first 2 shown]
	ds_read_b32 v82, v24 offset:3808
	ds_read2_b32 v[14:15], v32 offset0:120 offset1:176
	ds_read2_b32 v[22:23], v33 offset0:104 offset1:160
	;; [unrolled: 1-line block ×4, first 2 shown]
	s_waitcnt lgkmcnt(0)
	; wave barrier
	s_waitcnt lgkmcnt(0)
	ds_write2_b32 v25, v19, v27 offset1:2
	v_sub_f32_e32 v19, v21, v29
	v_fma_f32 v21, v21, 2.0, -v19
	ds_write2_b32 v65, v21, v19 offset1:2
	v_sub_f32_e32 v19, v55, v31
	v_fma_f32 v21, v55, 2.0, -v19
	;; [unrolled: 3-line block ×3, first 2 shown]
	v_sub_f32_e32 v25, v57, v43
	v_sub_f32_e32 v29, v58, v49
	;; [unrolled: 1-line block ×5, first 2 shown]
	v_fma_f32 v27, v57, 2.0, -v25
	v_fma_f32 v31, v58, 2.0, -v29
	;; [unrolled: 1-line block ×5, first 2 shown]
	ds_write2_b32 v72, v21, v19 offset1:2
	ds_write2_b32 v73, v27, v25 offset1:2
	;; [unrolled: 1-line block ×6, first 2 shown]
	v_and_b32_e32 v17, 3, v60
	v_lshlrev_b32_e32 v19, 3, v17
	s_waitcnt lgkmcnt(0)
	; wave barrier
	s_waitcnt lgkmcnt(0)
	global_load_dwordx2 v[46:47], v19, s[4:5] offset:16
	ds_read2_b32 v[48:49], v32 offset0:120 offset1:176
	ds_read2_b32 v[52:53], v33 offset0:104 offset1:160
	;; [unrolled: 1-line block ×4, first 2 shown]
	ds_read_b32 v19, v24
	ds_read_b32 v21, v24 offset:3808
	s_movk_i32 s0, 0x78
	v_and_or_b32 v58, v11, s0, v17
	v_lshl_add_u32 v58, v58, 2, 0
	s_movk_i32 s0, 0xf8
	s_movk_i32 s1, 0x2f8
	s_waitcnt vmcnt(0) lgkmcnt(5)
	v_mul_f32_e32 v27, v49, v47
	v_fma_f32 v27, v15, v46, -v27
	v_mul_f32_e32 v29, v15, v47
	s_waitcnt lgkmcnt(4)
	v_mul_f32_e32 v15, v52, v47
	v_fma_f32 v15, v22, v46, -v15
	v_mul_f32_e32 v31, v22, v47
	v_mul_f32_e32 v22, v53, v47
	v_fma_f32 v22, v23, v46, -v22
	v_mul_f32_e32 v35, v23, v47
	s_waitcnt lgkmcnt(3)
	v_mul_f32_e32 v23, v54, v47
	v_mul_f32_e32 v25, v48, v47
	v_fma_f32 v23, v38, v46, -v23
	v_mul_f32_e32 v37, v38, v47
	v_mul_f32_e32 v38, v55, v47
	v_fma_f32 v25, v14, v46, -v25
	v_mul_f32_e32 v14, v14, v47
	v_fma_f32 v38, v39, v46, -v38
	v_mul_f32_e32 v43, v39, v47
	s_waitcnt lgkmcnt(2)
	v_mul_f32_e32 v39, v56, v47
	v_fmac_f32_e32 v14, v48, v46
	v_fma_f32 v39, v40, v46, -v39
	v_mul_f32_e32 v48, v40, v47
	v_mul_f32_e32 v40, v57, v47
	v_fmac_f32_e32 v29, v49, v46
	v_fma_f32 v40, v41, v46, -v40
	v_mul_f32_e32 v49, v41, v47
	s_waitcnt lgkmcnt(0)
	v_mul_f32_e32 v41, v21, v47
	v_mul_f32_e32 v47, v82, v47
	v_fmac_f32_e32 v47, v21, v46
	v_sub_f32_e32 v21, v81, v25
	v_fma_f32 v25, v81, 2.0, -v21
	v_fmac_f32_e32 v31, v52, v46
	v_fmac_f32_e32 v35, v53, v46
	;; [unrolled: 1-line block ×6, first 2 shown]
	v_fma_f32 v41, v82, v46, -v41
	ds_read_b32 v46, v30
	ds_read_b32 v51, v18
	ds_read_b32 v52, v34
	ds_read_b32 v53, v36
	ds_read_b32 v54, v8
	ds_read_b32 v55, v10
	ds_read_b32 v56, v4
	ds_read_b32 v57, v6
	s_waitcnt lgkmcnt(0)
	; wave barrier
	s_waitcnt lgkmcnt(0)
	ds_write2_b32 v58, v25, v21 offset1:4
	v_sub_f32_e32 v21, v70, v27
	v_and_or_b32 v27, v9, s0, v17
	v_fma_f32 v25, v70, 2.0, -v21
	v_lshl_add_u32 v27, v27, 2, 0
	s_movk_i32 s0, 0x1f8
	ds_write2_b32 v27, v25, v21 offset1:4
	v_sub_f32_e32 v21, v19, v14
	v_sub_f32_e32 v14, v74, v15
	v_and_or_b32 v71, v7, s0, v17
	v_fma_f32 v15, v74, 2.0, -v14
	v_lshl_add_u32 v71, v71, 2, 0
	v_sub_f32_e32 v22, v75, v22
	ds_write2_b32 v71, v15, v14 offset1:4
	v_and_or_b32 v14, v5, s0, v17
	s_movk_i32 s0, 0x3f8
	v_fma_f32 v25, v75, 2.0, -v22
	v_sub_f32_e32 v23, v76, v23
	v_lshl_add_u32 v72, v14, 2, 0
	v_and_or_b32 v14, v64, s0, v17
	v_fma_f32 v59, v76, 2.0, -v23
	v_sub_f32_e32 v38, v77, v38
	ds_write2_b32 v72, v25, v22 offset1:4
	v_lshl_add_u32 v25, v14, 2, 0
	v_and_or_b32 v14, v66, s1, v17
	v_fma_f32 v62, v77, 2.0, -v38
	v_sub_f32_e32 v39, v78, v39
	ds_write2_b32 v25, v59, v23 offset1:4
	v_lshl_add_u32 v59, v14, 2, 0
	v_and_or_b32 v14, v67, s0, v17
	v_fma_f32 v63, v78, 2.0, -v39
	ds_write2_b32 v59, v62, v38 offset1:4
	v_lshl_add_u32 v62, v14, 2, 0
	v_and_or_b32 v14, v68, s0, v17
	v_sub_f32_e32 v40, v79, v40
	v_sub_f32_e32 v41, v80, v41
	ds_write2_b32 v62, v63, v39 offset1:4
	v_lshl_add_u32 v63, v14, 2, 0
	v_and_or_b32 v14, v69, s0, v17
	v_fma_f32 v19, v19, 2.0, -v21
	v_fma_f32 v65, v79, 2.0, -v40
	;; [unrolled: 1-line block ×3, first 2 shown]
	v_lshl_add_u32 v17, v14, 2, 0
	ds_write2_b32 v63, v65, v40 offset1:4
	ds_write2_b32 v17, v70, v41 offset1:4
	s_waitcnt lgkmcnt(0)
	; wave barrier
	s_waitcnt lgkmcnt(0)
	ds_read_b32 v65, v30
	ds_read_b32 v70, v18
	;; [unrolled: 1-line block ×9, first 2 shown]
	ds_read_b32 v80, v24 offset:3808
	ds_read2_b32 v[14:15], v32 offset0:120 offset1:176
	ds_read2_b32 v[22:23], v33 offset0:104 offset1:160
	ds_read2_b32 v[38:39], v16 offset0:88 offset1:144
	ds_read2_b32 v[40:41], v42 offset0:72 offset1:128
	s_waitcnt lgkmcnt(0)
	; wave barrier
	s_waitcnt lgkmcnt(0)
	ds_write2_b32 v58, v19, v21 offset1:4
	v_sub_f32_e32 v19, v46, v29
	v_fma_f32 v21, v46, 2.0, -v19
	ds_write2_b32 v27, v21, v19 offset1:4
	v_sub_f32_e32 v19, v51, v31
	v_fma_f32 v21, v51, 2.0, -v19
	;; [unrolled: 3-line block ×3, first 2 shown]
	v_sub_f32_e32 v27, v53, v37
	v_sub_f32_e32 v31, v54, v43
	;; [unrolled: 1-line block ×5, first 2 shown]
	v_fma_f32 v29, v53, 2.0, -v27
	v_fma_f32 v35, v54, 2.0, -v31
	;; [unrolled: 1-line block ×5, first 2 shown]
	ds_write2_b32 v72, v21, v19 offset1:4
	ds_write2_b32 v25, v29, v27 offset1:4
	;; [unrolled: 1-line block ×6, first 2 shown]
	v_and_b32_e32 v17, 7, v60
	v_lshlrev_b32_e32 v19, 3, v17
	s_waitcnt lgkmcnt(0)
	; wave barrier
	s_waitcnt lgkmcnt(0)
	global_load_dwordx2 v[46:47], v19, s[4:5] offset:48
	ds_read2_b32 v[48:49], v32 offset0:120 offset1:176
	ds_read2_b32 v[52:53], v33 offset0:104 offset1:160
	;; [unrolled: 1-line block ×4, first 2 shown]
	ds_read_b32 v19, v24
	ds_read_b32 v21, v24 offset:3808
	s_movk_i32 s0, 0x70
	v_and_or_b32 v11, v11, s0, v17
	s_movk_i32 s0, 0xf0
	v_and_or_b32 v9, v9, s0, v17
	s_movk_i32 s0, 0x1f0
	v_lshl_add_u32 v11, v11, 2, 0
	v_and_or_b32 v7, v7, s0, v17
	v_and_or_b32 v5, v5, s0, v17
	s_movk_i32 s0, 0x3f0
	s_movk_i32 s1, 0x2f0
	v_lshl_add_u32 v9, v9, 2, 0
	v_lshl_add_u32 v7, v7, 2, 0
	;; [unrolled: 1-line block ×3, first 2 shown]
	s_waitcnt vmcnt(0) lgkmcnt(5)
	v_mul_f32_e32 v25, v48, v47
	s_waitcnt lgkmcnt(3)
	v_mul_f32_e32 v35, v54, v47
	v_fma_f32 v25, v14, v46, -v25
	v_mul_f32_e32 v14, v14, v47
	v_mul_f32_e32 v27, v49, v47
	v_fma_f32 v35, v38, v46, -v35
	v_mul_f32_e32 v37, v38, v47
	v_mul_f32_e32 v38, v55, v47
	v_fmac_f32_e32 v14, v48, v46
	v_fma_f32 v27, v15, v46, -v27
	v_mul_f32_e32 v15, v15, v47
	v_mul_f32_e32 v29, v52, v47
	;; [unrolled: 1-line block ×3, first 2 shown]
	v_fma_f32 v38, v39, v46, -v38
	v_mul_f32_e32 v39, v39, v47
	s_waitcnt lgkmcnt(2)
	v_mul_f32_e32 v43, v56, v47
	v_mul_f32_e32 v48, v57, v47
	v_sub_f32_e32 v25, v79, v25
	v_fmac_f32_e32 v15, v49, v46
	v_fma_f32 v29, v22, v46, -v29
	v_mul_f32_e32 v22, v22, v47
	v_fma_f32 v31, v23, v46, -v31
	v_mul_f32_e32 v23, v23, v47
	v_fmac_f32_e32 v39, v55, v46
	v_fma_f32 v43, v40, v46, -v43
	v_mul_f32_e32 v40, v40, v47
	v_fma_f32 v48, v41, v46, -v48
	v_mul_f32_e32 v41, v41, v47
	s_waitcnt lgkmcnt(0)
	v_mul_f32_e32 v49, v21, v47
	v_mul_f32_e32 v47, v80, v47
	v_sub_f32_e32 v55, v19, v14
	v_fma_f32 v14, v79, 2.0, -v25
	v_fmac_f32_e32 v22, v52, v46
	v_fmac_f32_e32 v23, v53, v46
	;; [unrolled: 1-line block ×5, first 2 shown]
	v_fma_f32 v49, v80, v46, -v49
	v_fmac_f32_e32 v47, v21, v46
	ds_read_b32 v21, v30
	ds_read_b32 v46, v18
	;; [unrolled: 1-line block ×8, first 2 shown]
	v_sub_f32_e32 v27, v65, v27
	s_waitcnt lgkmcnt(0)
	; wave barrier
	s_waitcnt lgkmcnt(0)
	ds_write2_b32 v11, v14, v25 offset1:8
	v_and_or_b32 v14, v64, s0, v17
	v_sub_f32_e32 v71, v21, v15
	v_fma_f32 v15, v65, 2.0, -v27
	v_sub_f32_e32 v29, v70, v29
	v_lshl_add_u32 v25, v14, 2, 0
	v_and_or_b32 v14, v66, s1, v17
	v_sub_f32_e32 v65, v46, v22
	v_fma_f32 v22, v70, 2.0, -v29
	v_sub_f32_e32 v31, v73, v31
	ds_write2_b32 v9, v15, v27 offset1:8
	v_lshl_add_u32 v27, v14, 2, 0
	v_and_or_b32 v14, v67, s0, v17
	v_sub_f32_e32 v70, v51, v23
	v_fma_f32 v23, v73, 2.0, -v31
	v_sub_f32_e32 v35, v74, v35
	ds_write2_b32 v7, v22, v29 offset1:8
	v_lshl_add_u32 v29, v14, 2, 0
	v_and_or_b32 v14, v68, s0, v17
	v_fma_f32 v56, v74, 2.0, -v35
	v_sub_f32_e32 v38, v75, v38
	v_sub_f32_e32 v43, v76, v43
	;; [unrolled: 1-line block ×4, first 2 shown]
	ds_write2_b32 v5, v23, v31 offset1:8
	v_lshl_add_u32 v31, v14, 2, 0
	v_and_or_b32 v14, v69, s0, v17
	v_fma_f32 v19, v19, 2.0, -v55
	v_sub_f32_e32 v37, v52, v37
	v_sub_f32_e32 v39, v53, v39
	v_fma_f32 v57, v75, 2.0, -v38
	v_sub_f32_e32 v40, v54, v40
	v_fma_f32 v58, v76, 2.0, -v43
	;; [unrolled: 2-line block ×4, first 2 shown]
	ds_write2_b32 v25, v56, v35 offset1:8
	v_lshl_add_u32 v35, v14, 2, 0
	v_add_u32_e32 v17, 0x400, v24
	v_fma_f32 v21, v21, 2.0, -v71
	v_fma_f32 v46, v46, 2.0, -v65
	;; [unrolled: 1-line block ×8, first 2 shown]
	ds_write2_b32 v27, v57, v38 offset1:8
	ds_write2_b32 v29, v58, v43 offset1:8
	;; [unrolled: 1-line block ×4, first 2 shown]
	s_waitcnt lgkmcnt(0)
	; wave barrier
	s_waitcnt lgkmcnt(0)
	ds_read2_b32 v[14:15], v33 offset0:104 offset1:160
	ds_read2_b32 v[22:23], v17 offset0:136 offset1:192
	;; [unrolled: 1-line block ×5, first 2 shown]
	ds_read_b32 v43, v30
	ds_read_b32 v72, v18
	;; [unrolled: 1-line block ×4, first 2 shown]
	ds_read_b32 v75, v24 offset:3808
	ds_read_b32 v76, v24
	ds_read_b32 v77, v10
	;; [unrolled: 1-line block ×3, first 2 shown]
	s_waitcnt lgkmcnt(0)
	; wave barrier
	s_waitcnt lgkmcnt(0)
	ds_write2_b32 v11, v19, v55 offset1:8
	ds_write2_b32 v9, v21, v71 offset1:8
	;; [unrolled: 1-line block ×9, first 2 shown]
	v_and_b32_e32 v9, 15, v50
	v_lshlrev_b32_e32 v4, 4, v9
	s_waitcnt lgkmcnt(0)
	; wave barrier
	s_waitcnt lgkmcnt(0)
	global_load_dwordx4 v[4:7], v4, s[4:5] offset:112
	v_and_b32_e32 v11, 15, v44
	v_lshlrev_b32_e32 v19, 4, v11
	global_load_dwordx4 v[38:41], v19, s[4:5] offset:112
	v_and_b32_e32 v19, 15, v60
	v_lshlrev_b32_e32 v21, 4, v19
	;; [unrolled: 3-line block ×3, first 2 shown]
	global_load_dwordx4 v[52:55], v25, s[4:5] offset:112
	ds_read2_b32 v[64:65], v17 offset0:136 offset1:192
	ds_read2_b32 v[66:67], v16 offset0:88 offset1:144
	;; [unrolled: 1-line block ×4, first 2 shown]
	s_movk_i32 s0, 0xab
	s_waitcnt vmcnt(3) lgkmcnt(3)
	v_mul_f32_e32 v25, v64, v5
	v_fma_f32 v25, v22, v4, -v25
	v_mul_f32_e32 v22, v22, v5
	ds_read_b32 v5, v10
	v_fmac_f32_e32 v22, v64, v4
	s_waitcnt lgkmcnt(3)
	v_mul_f32_e32 v4, v66, v7
	v_fma_f32 v27, v56, v6, -v4
	v_mul_f32_e32 v7, v56, v7
	s_waitcnt vmcnt(2) lgkmcnt(2)
	v_mul_f32_e32 v4, v68, v39
	v_fmac_f32_e32 v7, v66, v6
	v_fma_f32 v6, v58, v38, -v4
	s_waitcnt lgkmcnt(1)
	v_mul_f32_e32 v4, v70, v41
	v_mul_f32_e32 v29, v58, v39
	v_fma_f32 v31, v62, v40, -v4
	s_waitcnt vmcnt(1)
	v_mul_f32_e32 v4, v65, v47
	v_fmac_f32_e32 v29, v68, v38
	ds_read_b32 v38, v8
	v_fma_f32 v37, v23, v46, -v4
	s_waitcnt lgkmcnt(1)
	v_mul_f32_e32 v4, v5, v47
	v_mul_f32_e32 v35, v62, v41
	v_fma_f32 v39, v77, v46, -v4
	v_mul_f32_e32 v4, v67, v49
	v_fmac_f32_e32 v35, v70, v40
	v_mul_f32_e32 v40, v77, v47
	v_fma_f32 v41, v57, v48, -v4
	v_mul_f32_e32 v4, v69, v47
	v_fmac_f32_e32 v40, v5, v46
	v_fma_f32 v56, v59, v46, -v4
	ds_read2_b32 v[4:5], v33 offset0:104 offset1:160
	ds_read_b32 v62, v24
	ds_read_b32 v58, v24 offset:3808
	v_mul_f32_e32 v23, v23, v47
	v_mul_f32_e32 v47, v59, v47
	v_fmac_f32_e32 v23, v65, v46
	s_waitcnt lgkmcnt(2)
	v_mul_f32_e32 v59, v5, v49
	v_fma_f32 v59, v15, v48, -v59
	v_mul_f32_e32 v15, v15, v49
	v_fmac_f32_e32 v15, v5, v48
	s_waitcnt vmcnt(0)
	v_mul_f32_e32 v5, v4, v53
	v_fma_f32 v5, v14, v52, -v5
	v_mul_f32_e32 v14, v14, v53
	v_fmac_f32_e32 v14, v4, v52
	s_waitcnt lgkmcnt(0)
	v_mul_f32_e32 v4, v58, v55
	v_mul_f32_e32 v52, v75, v55
	v_add_f32_e32 v55, v39, v59
	v_fma_f32 v4, v75, v54, -v4
	v_fmac_f32_e32 v52, v58, v54
	v_add_f32_e32 v54, v76, v39
	v_fmac_f32_e32 v76, -0.5, v55
	v_sub_f32_e32 v55, v40, v15
	v_fmamk_f32 v58, v55, 0x3f5db3d7, v76
	v_fmac_f32_e32 v76, 0xbf5db3d7, v55
	v_add_f32_e32 v55, v62, v40
	v_mul_f32_e32 v51, v57, v49
	v_fmac_f32_e32 v47, v69, v46
	v_mul_f32_e32 v46, v71, v49
	v_mul_f32_e32 v57, v63, v49
	v_add_f32_e32 v55, v55, v15
	v_add_f32_e32 v15, v40, v15
	v_fmac_f32_e32 v51, v67, v48
	v_fma_f32 v46, v63, v48, -v46
	v_fmac_f32_e32 v57, v71, v48
	ds_read_b32 v48, v30
	ds_read_b32 v49, v18
	;; [unrolled: 1-line block ×4, first 2 shown]
	v_fmac_f32_e32 v62, -0.5, v15
	v_sub_f32_e32 v15, v39, v59
	v_add_f32_e32 v40, v25, v27
	v_fmamk_f32 v39, v15, 0xbf5db3d7, v62
	v_fmac_f32_e32 v62, 0x3f5db3d7, v15
	v_add_f32_e32 v15, v43, v25
	v_fmac_f32_e32 v43, -0.5, v40
	v_sub_f32_e32 v40, v22, v7
	v_add_f32_e32 v54, v54, v59
	v_fmamk_f32 v59, v40, 0x3f5db3d7, v43
	v_fmac_f32_e32 v43, 0xbf5db3d7, v40
	s_waitcnt lgkmcnt(3)
	v_add_f32_e32 v40, v48, v22
	v_add_f32_e32 v40, v40, v7
	v_add_f32_e32 v7, v22, v7
	v_fmac_f32_e32 v48, -0.5, v7
	v_sub_f32_e32 v7, v25, v27
	v_add_f32_e32 v22, v37, v41
	v_fmamk_f32 v25, v7, 0xbf5db3d7, v48
	v_fmac_f32_e32 v48, 0x3f5db3d7, v7
	v_add_f32_e32 v7, v72, v37
	v_fmac_f32_e32 v72, -0.5, v22
	v_sub_f32_e32 v22, v23, v51
	v_add_f32_e32 v15, v15, v27
	v_fmamk_f32 v27, v22, 0x3f5db3d7, v72
	v_fmac_f32_e32 v72, 0xbf5db3d7, v22
	s_waitcnt lgkmcnt(2)
	v_add_f32_e32 v22, v49, v23
	v_add_f32_e32 v64, v22, v51
	v_add_f32_e32 v22, v23, v51
	;; [unrolled: 15-line block ×4, first 2 shown]
	v_fmac_f32_e32 v63, -0.5, v23
	v_sub_f32_e32 v23, v56, v46
	v_add_f32_e32 v47, v5, v4
	v_add_f32_e32 v6, v6, v46
	v_fmamk_f32 v46, v23, 0xbf5db3d7, v63
	v_fmac_f32_e32 v63, 0x3f5db3d7, v23
	v_add_f32_e32 v23, v78, v5
	v_fmac_f32_e32 v78, -0.5, v47
	v_sub_f32_e32 v47, v14, v52
	v_fmamk_f32 v56, v47, 0x3f5db3d7, v78
	v_fmac_f32_e32 v78, 0xbf5db3d7, v47
	v_add_f32_e32 v47, v38, v14
	v_add_f32_e32 v14, v14, v52
	;; [unrolled: 1-line block ×3, first 2 shown]
	v_fmac_f32_e32 v38, -0.5, v14
	v_sub_f32_e32 v4, v5, v4
	v_fmamk_f32 v5, v4, 0xbf5db3d7, v38
	v_fmac_f32_e32 v38, 0x3f5db3d7, v4
	v_lshrrev_b32_e32 v4, 4, v60
	v_mul_u32_u24_e32 v4, 48, v4
	v_or_b32_e32 v4, v4, v19
	v_add_f32_e32 v47, v47, v52
	v_lshl_add_u32 v52, v4, 2, 0
	v_lshrrev_b32_e32 v4, 4, v50
	v_mul_lo_u32 v4, v4, 48
	v_or_b32_e32 v4, v4, v9
	v_lshl_add_u32 v9, v4, 2, 0
	v_lshrrev_b32_e32 v4, 4, v61
	v_mul_lo_u32 v4, v4, 48
	v_or_b32_e32 v4, v4, v19
	s_waitcnt lgkmcnt(0)
	; wave barrier
	ds_write2_b32 v52, v54, v58 offset1:16
	ds_write_b32 v52, v76 offset:128
	ds_write2_b32 v9, v15, v59 offset1:16
	ds_write_b32 v9, v43 offset:128
	v_lshl_add_u32 v15, v4, 2, 0
	v_lshrrev_b32_e32 v4, 4, v44
	v_mul_lo_u32 v4, v4, 48
	v_or_b32_e32 v4, v4, v11
	v_lshl_add_u32 v11, v4, 2, 0
	v_lshrrev_b32_e32 v4, 4, v45
	v_mul_lo_u32 v4, v4, 48
	v_or_b32_e32 v4, v4, v19
	;; [unrolled: 4-line block ×3, first 2 shown]
	v_lshl_add_u32 v21, v4, 2, 0
	ds_write2_b32 v15, v7, v27 offset1:16
	ds_write_b32 v15, v72 offset:128
	ds_write2_b32 v11, v22, v41 offset1:16
	ds_write_b32 v11, v73 offset:128
	;; [unrolled: 2-line block ×4, first 2 shown]
	s_waitcnt lgkmcnt(0)
	; wave barrier
	s_waitcnt lgkmcnt(0)
	ds_read2_b32 v[6:7], v33 offset0:104 offset1:160
	ds_read2_b32 v[22:23], v17 offset0:136 offset1:192
	;; [unrolled: 1-line block ×5, first 2 shown]
	ds_read_b32 v43, v30
	ds_read_b32 v84, v18
	;; [unrolled: 1-line block ×4, first 2 shown]
	ds_read_b32 v86, v24 offset:3808
	ds_read_b32 v87, v24
	ds_read_b32 v88, v10
	;; [unrolled: 1-line block ×3, first 2 shown]
	s_waitcnt lgkmcnt(0)
	; wave barrier
	s_waitcnt lgkmcnt(0)
	ds_write2_b32 v52, v55, v39 offset1:16
	ds_write_b32 v52, v62 offset:128
	ds_write2_b32 v9, v40, v25 offset1:16
	ds_write_b32 v9, v48 offset:128
	;; [unrolled: 2-line block ×6, first 2 shown]
	v_mul_lo_u16_sdwa v5, v50, s0 dst_sel:DWORD dst_unused:UNUSED_PAD src0_sel:BYTE_0 src1_sel:DWORD
	v_lshrrev_b16_e32 v19, 13, v5
	v_mul_lo_u16_e32 v5, 48, v19
	v_sub_u16_e32 v21, v50, v5
	v_mov_b32_e32 v5, 4
	v_lshlrev_b32_sdwa v9, v5, v21 dst_sel:DWORD dst_unused:UNUSED_PAD src0_sel:DWORD src1_sel:BYTE_0
	s_waitcnt lgkmcnt(0)
	; wave barrier
	s_waitcnt lgkmcnt(0)
	global_load_dwordx4 v[38:41], v9, s[4:5] offset:368
	v_mul_lo_u16_sdwa v9, v61, s0 dst_sel:DWORD dst_unused:UNUSED_PAD src0_sel:BYTE_0 src1_sel:DWORD
	v_lshrrev_b16_e32 v35, 13, v9
	v_mul_lo_u16_e32 v9, 48, v35
	v_sub_u16_e32 v37, v61, v9
	v_lshlrev_b32_sdwa v9, v5, v37 dst_sel:DWORD dst_unused:UNUSED_PAD src0_sel:DWORD src1_sel:BYTE_0
	global_load_dwordx4 v[54:57], v9, s[4:5] offset:368
	v_mul_lo_u16_sdwa v9, v44, s0 dst_sel:DWORD dst_unused:UNUSED_PAD src0_sel:BYTE_0 src1_sel:DWORD
	v_lshrrev_b16_e32 v89, 13, v9
	v_mul_lo_u16_e32 v9, 48, v89
	v_sub_u16_e32 v90, v44, v9
	v_lshlrev_b32_sdwa v5, v5, v90 dst_sel:DWORD dst_unused:UNUSED_PAD src0_sel:DWORD src1_sel:BYTE_0
	global_load_dwordx4 v[62:65], v5, s[4:5] offset:368
	v_mul_u32_u24_sdwa v5, v45, s2 dst_sel:DWORD dst_unused:UNUSED_PAD src0_sel:WORD_0 src1_sel:DWORD
	v_lshrrev_b32_e32 v91, 21, v5
	v_mul_lo_u16_e32 v5, 48, v91
	v_sub_u16_e32 v92, v45, v5
	v_lshlrev_b32_e32 v5, 4, v92
	global_load_dwordx4 v[66:69], v5, s[4:5] offset:368
	v_subrev_u32_e32 v5, 48, v60
	v_cmp_gt_u32_e64 s[0:1], 48, v60
	v_mov_b32_e32 v45, 0
	s_waitcnt vmcnt(3)
	v_mul_f32_e32 v47, v22, v39
	v_cndmask_b32_e64 v15, v5, v60, s[0:1]
	v_lshlrev_b32_e32 v44, 1, v15
	v_lshl_add_u64 v[44:45], v[44:45], 3, s[4:5]
	global_load_dwordx4 v[70:73], v[44:45], off offset:368
	v_mul_u32_u24_sdwa v5, v1, s2 dst_sel:DWORD dst_unused:UNUSED_PAD src0_sel:WORD_0 src1_sel:DWORD
	v_lshrrev_b32_e32 v93, 21, v5
	v_mul_lo_u16_e32 v5, 48, v93
	v_sub_u16_e32 v94, v1, v5
	v_lshlrev_b32_e32 v1, 4, v94
	global_load_dwordx4 v[74:77], v1, s[4:5] offset:368
	ds_read2_b32 v[44:45], v17 offset0:136 offset1:192
	ds_read2_b32 v[82:83], v16 offset0:88 offset1:144
	ds_read_b32 v5, v10
	s_waitcnt vmcnt(3)
	v_mul_f32_e32 v51, v78, v63
	v_mul_f32_e32 v53, v58, v41
	s_waitcnt lgkmcnt(2)
	v_mul_f32_e32 v1, v44, v39
	v_fma_f32 v29, v22, v38, -v1
	s_waitcnt lgkmcnt(1)
	v_mul_f32_e32 v1, v82, v41
	v_fma_f32 v48, v58, v40, -v1
	v_mul_f32_e32 v1, v45, v55
	v_fmac_f32_e32 v47, v44, v38
	v_fma_f32 v25, v23, v54, -v1
	v_mul_f32_e32 v44, v23, v55
	ds_read2_b32 v[22:23], v32 offset0:120 offset1:176
	ds_read2_b32 v[38:39], v42 offset0:72 offset1:128
	v_mul_f32_e32 v1, v83, v57
	v_fma_f32 v49, v59, v56, -v1
	v_mul_f32_e32 v55, v80, v65
	s_waitcnt lgkmcnt(1)
	v_mul_f32_e32 v1, v22, v63
	v_fma_f32 v31, v78, v62, -v1
	s_waitcnt lgkmcnt(0)
	v_mul_f32_e32 v1, v38, v65
	v_fma_f32 v52, v80, v64, -v1
	s_waitcnt vmcnt(2)
	v_mul_f32_e32 v1, v23, v67
	v_fma_f32 v27, v79, v66, -v1
	v_mul_f32_e32 v1, v39, v69
	v_fma_f32 v46, v81, v68, -v1
	ds_read2_b32 v[10:11], v33 offset0:104 offset1:160
	ds_read_b32 v1, v8
	v_fmac_f32_e32 v51, v22, v62
	v_fmac_f32_e32 v55, v38, v64
	;; [unrolled: 1-line block ×3, first 2 shown]
	v_mul_f32_e32 v54, v59, v57
	ds_read_b32 v65, v24
	v_mul_f32_e32 v58, v81, v69
	v_fmac_f32_e32 v53, v82, v40
	v_fmac_f32_e32 v58, v39, v68
	v_mul_f32_e32 v45, v79, v67
	v_fmac_f32_e32 v45, v23, v66
	v_cmp_lt_u32_e64 s[0:1], 47, v60
	v_fmac_f32_e32 v54, v83, v56
	v_cmp_lt_u32_e64 s[2:3], 31, v60
	s_waitcnt vmcnt(1)
	v_mul_f32_e32 v62, v88, v71
	v_mul_f32_e32 v8, v5, v71
	v_fmac_f32_e32 v62, v5, v70
	s_waitcnt lgkmcnt(2)
	v_mul_f32_e32 v5, v11, v73
	v_fma_f32 v63, v7, v72, -v5
	ds_read_b32 v5, v24 offset:3808
	v_mul_f32_e32 v64, v7, v73
	s_waitcnt vmcnt(0)
	v_mul_f32_e32 v9, v6, v75
	v_mul_f32_e32 v7, v86, v77
	v_fma_f32 v59, v88, v70, -v8
	v_mul_f32_e32 v8, v6, v74
	v_mul_f32_e32 v6, v10, v75
	v_fmac_f32_e32 v9, v10, v74
	s_waitcnt lgkmcnt(0)
	v_mul_f32_e32 v16, v5, v77
	v_fmac_f32_e32 v7, v5, v76
	v_fmac_f32_e32 v64, v11, v72
	v_pk_add_f32 v[10:11], v[8:9], v[6:7] neg_lo:[0,1] neg_hi:[0,1]
	v_mov_b32_e32 v5, 0x3f5db3d7
	v_fma_f32 v22, v86, v76, -v16
	v_pk_add_f32 v[38:39], v[4:5], v[10:11]
	v_pk_mul_f32 v[40:41], v[4:5], v[10:11]
	v_add_f32_e32 v5, v10, v22
	v_fmac_f32_e32 v4, -0.5, v5
	v_add_f32_e32 v5, v59, v63
	v_add_f32_e32 v16, v41, v4
	v_mov_b32_e32 v23, v4
	v_add_f32_e32 v4, v87, v59
	v_fmac_f32_e32 v87, -0.5, v5
	v_mov_b32_e32 v5, 0x240
	v_cndmask_b32_e64 v5, 0, v5, s[0:1]
	v_lshlrev_b32_e32 v6, 2, v15
	v_add3_u32 v8, 0, v5, v6
	v_sub_f32_e32 v5, v62, v64
	ds_read_b32 v15, v36
	ds_read_b32 v6, v34
	v_add_f32_e32 v4, v4, v63
	ds_read_b32 v11, v18
	ds_read_b32 v66, v30
	v_fmamk_f32 v18, v5, 0x3f5db3d7, v87
	s_waitcnt lgkmcnt(0)
	; wave barrier
	s_waitcnt lgkmcnt(0)
	ds_write2_b32 v8, v4, v18 offset1:48
	v_fmac_f32_e32 v87, 0xbf5db3d7, v5
	v_add_f32_e32 v5, v29, v48
	v_mov_b32_e32 v18, 2
	v_add_f32_e32 v4, v43, v29
	v_fmac_f32_e32 v43, -0.5, v5
	v_mul_u32_u24_e32 v5, 0x240, v19
	v_lshlrev_b32_sdwa v19, v18, v21 dst_sel:DWORD dst_unused:UNUSED_PAD src0_sel:DWORD src1_sel:BYTE_0
	v_add3_u32 v67, 0, v5, v19
	v_sub_f32_e32 v5, v47, v53
	v_add_f32_e32 v4, v4, v48
	v_fmamk_f32 v19, v5, 0x3f5db3d7, v43
	v_fmac_f32_e32 v43, 0xbf5db3d7, v5
	v_add_f32_e32 v5, v25, v49
	ds_write_b32 v8, v87 offset:384
	ds_write2_b32 v67, v4, v19 offset1:48
	v_add_f32_e32 v4, v84, v25
	v_fmac_f32_e32 v84, -0.5, v5
	v_sub_f32_e32 v5, v44, v54
	v_add_f32_e32 v21, v31, v52
	v_fmamk_f32 v19, v5, 0x3f5db3d7, v84
	v_fmac_f32_e32 v84, 0xbf5db3d7, v5
	v_add_f32_e32 v5, v85, v31
	v_fmac_f32_e32 v85, -0.5, v21
	v_mul_u32_u24_e32 v21, 0x240, v35
	v_lshlrev_b32_sdwa v34, v18, v37 dst_sel:DWORD dst_unused:UNUSED_PAD src0_sel:DWORD src1_sel:BYTE_0
	v_add3_u32 v68, 0, v21, v34
	v_add_f32_e32 v4, v4, v49
	ds_write_b32 v67, v43 offset:384
	ds_write2_b32 v68, v4, v19 offset1:48
	v_sub_f32_e32 v4, v51, v55
	v_fmamk_f32 v21, v4, 0x3f5db3d7, v85
	v_fmac_f32_e32 v85, 0xbf5db3d7, v4
	v_add_f32_e32 v4, v14, v27
	v_add_f32_e32 v19, v27, v46
	v_mov_b32_e32 v39, v41
	v_fmac_f32_e32 v14, -0.5, v19
	v_sub_f32_e32 v19, v45, v58
	v_add_f32_e32 v35, v5, v52
	v_add_f32_e32 v36, v4, v46
	v_mul_u32_u24_e32 v4, 0x240, v89
	v_lshlrev_b32_sdwa v5, v18, v90 dst_sel:DWORD dst_unused:UNUSED_PAD src0_sel:DWORD src1_sel:BYTE_0
	v_fmamk_f32 v34, v19, 0x3f5db3d7, v14
	v_fmac_f32_e32 v14, 0xbf5db3d7, v19
	v_add3_u32 v69, 0, v4, v5
	v_pk_add_f32 v[18:19], v[22:23], v[38:39]
	v_pk_add_f32 v[4:5], v[22:23], v[38:39] neg_lo:[0,1] neg_hi:[0,1]
	v_lshlrev_b32_e32 v19, 2, v92
	v_mul_u32_u24_e32 v4, 0x240, v91
	v_add3_u32 v70, 0, v4, v19
	v_mul_u32_u24_e32 v4, 0x240, v93
	v_lshlrev_b32_e32 v19, 2, v94
	v_add3_u32 v71, 0, v4, v19
	v_add_u32_e32 v4, 0x200, v24
	ds_write_b32 v68, v84 offset:384
	ds_write2_b32 v69, v35, v21 offset1:48
	ds_write_b32 v69, v85 offset:384
	ds_write2_b32 v70, v36, v34 offset1:48
	ds_write_b32 v70, v14 offset:384
	ds_write2_b32 v71, v18, v16 offset1:48
	ds_write_b32 v71, v5 offset:384
	s_waitcnt lgkmcnt(0)
	; wave barrier
	s_waitcnt lgkmcnt(0)
	ds_read2_b32 v[36:37], v4 offset0:72 offset1:160
	ds_read2_b32 v[40:41], v17 offset0:88 offset1:176
	;; [unrolled: 1-line block ×5, first 2 shown]
	ds_read_b32 v32, v30
	ds_read_b32 v17, v24 offset:3680
	ds_read2_b32 v[56:57], v24 offset1:144
	v_sub_u32_e32 v4, 0, v26
	v_cmp_gt_u32_e64 s[0:1], 32, v60
	s_and_saveexec_b64 s[8:9], s[2:3]
	s_xor_b64 s[8:9], exec, s[8:9]
; %bb.14:
	v_mov_b32_e32 v19, v5
; %bb.15:
	s_or_saveexec_b64 s[8:9], s[8:9]
	v_sub_u32_e32 v30, 0, v20
	v_add_u32_e32 v4, v0, v4
	v_lshl_add_u32 v5, v60, 2, 0
                                        ; implicit-def: $vgpr23
                                        ; implicit-def: $vgpr20
	s_xor_b64 exec, exec, s[8:9]
	s_cbranch_execz .LBB0_17
; %bb.16:
	ds_read_b32 v14, v4
	ds_read_b32 v18, v5 offset:1024
	ds_read_b32 v19, v5 offset:2176
	;; [unrolled: 1-line block ×6, first 2 shown]
.LBB0_17:
	s_or_b64 exec, exec, s[8:9]
	v_add_f32_e32 v0, v65, v62
	v_add_f32_e32 v33, v0, v64
	v_add_f32_e32 v0, v62, v64
	v_fmac_f32_e32 v65, -0.5, v0
	v_sub_f32_e32 v0, v59, v63
	v_fmamk_f32 v59, v0, 0xbf5db3d7, v65
	v_fmac_f32_e32 v65, 0x3f5db3d7, v0
	v_add_f32_e32 v0, v66, v47
	v_add_f32_e32 v62, v0, v53
	v_add_f32_e32 v0, v47, v53
	v_fmac_f32_e32 v66, -0.5, v0
	v_sub_f32_e32 v0, v29, v48
	v_fmamk_f32 v29, v0, 0xbf5db3d7, v66
	v_fmac_f32_e32 v66, 0x3f5db3d7, v0
	;; [unrolled: 7-line block ×5, first 2 shown]
	v_add_f32_e32 v0, v1, v9
	v_add_f32_e32 v9, v9, v7
	v_fmac_f32_e32 v1, -0.5, v9
	v_sub_f32_e32 v9, v10, v22
	v_mul_f32_e32 v27, 0x3f5db3d7, v9
	v_mov_b32_e32 v26, v7
	v_mov_b32_e32 v25, v1
	v_pk_add_f32 v[26:27], v[0:1], v[26:27]
	v_add_u32_e32 v0, 0x200, v24
	v_fmac_f32_e32 v25, 0xbf5db3d7, v9
	s_waitcnt lgkmcnt(0)
	; wave barrier
	s_waitcnt lgkmcnt(0)
	ds_write2_b32 v8, v33, v59 offset1:48
	ds_write_b32 v8, v65 offset:384
	ds_write2_b32 v67, v62, v29 offset1:48
	ds_write_b32 v67, v66 offset:384
	;; [unrolled: 2-line block ×6, first 2 shown]
	s_waitcnt lgkmcnt(0)
	; wave barrier
	s_waitcnt lgkmcnt(0)
	ds_read2_b32 v[44:45], v0 offset0:72 offset1:160
	v_add_u32_e32 v0, 0x400, v24
	ds_read2_b32 v[52:53], v0 offset0:88 offset1:176
	v_add_u32_e32 v0, 0x600, v24
	;; [unrolled: 2-line block ×5, first 2 shown]
	ds_read2_b32 v[58:59], v24 offset1:144
	ds_read_b32 v33, v0
	ds_read_b32 v22, v24 offset:3680
	s_and_saveexec_b64 s[8:9], s[2:3]
	s_xor_b64 s[2:3], exec, s[8:9]
                                        ; implicit-def: $vgpr29
; %bb.18:
                                        ; implicit-def: $vgpr4
                                        ; implicit-def: $vgpr5
                                        ; implicit-def: $vgpr24
; %bb.19:
	s_or_saveexec_b64 s[2:3], s[2:3]
                                        ; implicit-def: $vgpr31
                                        ; implicit-def: $vgpr28
	s_xor_b64 exec, exec, s[2:3]
	s_cbranch_execz .LBB0_21
; %bb.20:
	ds_read_b32 v15, v4
	ds_read_b32 v26, v5 offset:1024
	ds_read_b32 v27, v5 offset:2176
	;; [unrolled: 1-line block ×6, first 2 shown]
	s_or_b64 exec, exec, s[2:3]
	s_and_saveexec_b64 s[2:3], vcc
	s_cbranch_execz .LBB0_24
	s_branch .LBB0_22
.LBB0_21:
	s_or_b64 exec, exec, s[2:3]
	s_and_saveexec_b64 s[2:3], vcc
	s_cbranch_execz .LBB0_24
.LBB0_22:
	v_mul_u32_u24_e32 v0, 6, v60
	v_lshlrev_b32_e32 v0, 3, v0
	global_load_dwordx4 v[62:65], v0, s[4:5] offset:1136
	global_load_dwordx4 v[66:69], v0, s[4:5] offset:1168
	global_load_dwordx4 v[70:73], v0, s[4:5] offset:1152
	v_mul_i32_i24_e32 v50, 6, v50
	v_mov_b32_e32 v51, 0
	v_mul_lo_u32 v0, s7, v2
	v_mul_lo_u32 v1, s6, v3
	v_mad_u64_u32 v[74:75], s[2:3], s6, v2, 0
	v_lshl_add_u64 v[80:81], v[50:51], 3, s[4:5]
	v_add3_u32 v75, v75, v1, v0
	global_load_dwordx4 v[8:11], v[80:81], off offset:1168
	global_load_dwordx4 v[0:3], v[80:81], off offset:1152
	;; [unrolled: 1-line block ×3, first 2 shown]
	s_mov_b32 s15, 0x38e38e39
	v_mul_hi_u32 v30, v60, s15
	s_movk_i32 s9, 0x90
	v_lshrrev_b32_e32 v30, 5, v30
	v_mul_lo_u32 v30, v30, s9
	v_lshl_add_u64 v[74:75], v[74:75], 3, s[10:11]
	v_sub_u32_e32 v100, v60, v30
	v_lshl_add_u64 v[12:13], v[12:13], 3, v[74:75]
	v_mad_u64_u32 v[74:75], s[2:3], s16, v100, 0
	v_add_u32_e32 v93, 0x90, v100
	v_add_u32_e32 v95, 0x120, v100
	;; [unrolled: 1-line block ×3, first 2 shown]
	v_mov_b32_e32 v30, v75
	v_mad_u64_u32 v[80:81], s[2:3], s16, v93, 0
	v_add_u32_e32 v103, 0x2d0, v100
	v_mad_u64_u32 v[82:83], s[2:3], s16, v95, 0
	v_mad_u64_u32 v[86:87], s[2:3], s16, v102, 0
	s_waitcnt lgkmcnt(0)
	v_mad_u64_u32 v[90:91], s[2:3], s17, v100, v[30:31]
	v_mov_b32_e32 v30, v81
	v_add_u32_e32 v101, 0x1b0, v100
	v_mad_u64_u32 v[88:89], s[2:3], s16, v103, 0
	v_mov_b32_e32 v50, v83
	v_mov_b32_e32 v94, v87
	v_mad_u64_u32 v[96:97], s[2:3], s17, v93, v[30:31]
	v_mov_b32_e32 v78, v47
	v_mov_b32_e32 v79, v53
	;; [unrolled: 3-line block ×3, first 2 shown]
	v_mad_u64_u32 v[98:99], s[2:3], s17, v95, v[50:51]
	v_mad_u64_u32 v[94:95], s[2:3], s17, v102, v[94:95]
	v_mov_b32_e32 v81, v96
	v_mov_b32_e32 v76, v35
	;; [unrolled: 1-line block ×4, first 2 shown]
	v_mad_u64_u32 v[90:91], s[2:3], s17, v103, v[90:91]
	v_mov_b32_e32 v87, v94
	v_mov_b32_e32 v24, v35
	v_mad_u64_u32 v[92:93], s[2:3], s17, v101, v[92:93]
	v_mov_b32_e32 v89, v90
	v_mov_b32_e32 v85, v92
	;; [unrolled: 1-line block ×5, first 2 shown]
	v_lshl_add_u64 v[74:75], v[74:75], 3, v[12:13]
	s_mov_b32 s2, 0x3f4a47b2
	s_mov_b32 s20, 0x3f955555
	;; [unrolled: 1-line block ×10, first 2 shown]
	v_lshl_add_u64 v[80:81], v[80:81], 3, v[12:13]
	s_waitcnt vmcnt(5)
	v_mov_b32_e32 v104, v65
	s_waitcnt vmcnt(4)
	v_mov_b32_e32 v96, v67
	;; [unrolled: 2-line block ×3, first 2 shown]
	v_mov_b32_e32 v94, v66
	v_mov_b32_e32 v95, v71
	v_pk_mul_f32 v[78:79], v[78:79], v[96:97]
	v_mul_f32_e32 v90, v35, v67
	v_pk_fma_f32 v[76:77], v[76:77], v[94:95], v[78:79]
	v_mov_b32_e32 v94, v45
	v_mov_b32_e32 v95, v49
	;; [unrolled: 1-line block ×3, first 2 shown]
	v_mul_f32_e32 v92, v37, v65
	v_fmac_f32_e32 v90, v47, v66
	v_pk_fma_f32 v[66:67], v[24:25], v[66:67], v[78:79] neg_lo:[0,0,1] neg_hi:[0,0,1]
	v_mov_b32_e32 v78, v37
	v_mov_b32_e32 v79, v39
	v_pk_mul_f32 v[94:95], v[94:95], v[104:105]
	v_mov_b32_e32 v104, v64
	v_mov_b32_e32 v105, v73
	;; [unrolled: 1-line block ×3, first 2 shown]
	v_mul_f32_e32 v50, v55, v69
	v_fmac_f32_e32 v92, v45, v64
	v_pk_fma_f32 v[78:79], v[78:79], v[104:105], v[94:95]
	v_pk_fma_f32 v[64:65], v[24:25], v[64:65], v[94:95] neg_lo:[0,0,1] neg_hi:[0,0,1]
	v_mov_b32_e32 v95, v68
	v_mov_b32_e32 v104, v53
	;; [unrolled: 1-line block ×4, first 2 shown]
	v_fma_f32 v101, v43, v68, -v50
	v_pk_mul_f32 v[94:95], v[104:105], v[94:95]
	v_mov_b32_e32 v104, v41
	v_mov_b32_e32 v105, v43
	;; [unrolled: 1-line block ×4, first 2 shown]
	v_mul_f32_e32 v30, v59, v63
	v_pk_fma_f32 v[68:69], v[104:105], v[68:69], v[94:95]
	v_pk_fma_f32 v[70:71], v[24:25], v[70:71], v[94:95] neg_lo:[0,0,1] neg_hi:[0,0,1]
	v_mov_b32_e32 v94, v73
	v_mov_b32_e32 v95, v62
	v_fma_f32 v99, v57, v62, -v30
	v_mov_b32_e32 v73, v63
	v_mov_b32_e32 v62, v39
	;; [unrolled: 1-line block ×3, first 2 shown]
	v_pk_mul_f32 v[94:95], v[106:107], v[94:95]
	v_mov_b32_e32 v67, v77
	v_pk_fma_f32 v[106:107], v[62:63], v[72:73], v[94:95] neg_lo:[0,0,1] neg_hi:[0,0,1]
	v_pk_fma_f32 v[62:63], v[62:63], v[72:73], v[94:95]
	v_mov_b32_e32 v65, v79
	v_mov_b32_e32 v71, v69
	;; [unrolled: 1-line block ×3, first 2 shown]
	s_waitcnt vmcnt(0)
	v_mul_f32_e32 v24, v44, v5
	v_add_f32_e32 v97, v92, v90
	v_add_f32_e32 v102, v99, v101
	v_pk_add_f32 v[104:105], v[64:65], v[66:67] neg_lo:[0,1] neg_hi:[0,1]
	v_pk_add_f32 v[72:73], v[106:107], v[70:71]
	v_pk_add_f32 v[64:65], v[64:65], v[66:67]
	v_fma_f32 v37, v36, v4, -v24
	v_mul_f32_e32 v24, v22, v11
	v_mov_b32_e32 v68, v69
	v_mov_b32_e32 v69, v70
	v_add_f32_e32 v95, v73, v97
	v_add_f32_e32 v66, v102, v64
	v_mov_b32_e32 v67, v65
	v_mov_b32_e32 v94, v72
	v_fma_f32 v45, v17, v10, -v24
	v_mov_b32_e32 v93, v106
	v_add_u32_e32 v30, 0x360, v100
	v_mov_b32_e32 v91, v69
	v_mov_b32_e32 v24, v63
	;; [unrolled: 1-line block ×4, first 2 shown]
	v_pk_add_f32 v[66:67], v[66:67], v[94:95]
	v_mov_b32_e32 v57, v58
	v_pk_add_f32 v[90:91], v[92:93], v[90:91] neg_lo:[0,1] neg_hi:[0,1]
	v_pk_add_f32 v[62:63], v[24:25], v[68:69] neg_lo:[0,1] neg_hi:[0,1]
	;; [unrolled: 1-line block ×3, first 2 shown]
	v_mov_b32_e32 v103, v65
	v_mov_b32_e32 v96, v72
	;; [unrolled: 1-line block ×3, first 2 shown]
	v_pk_add_f32 v[56:57], v[56:57], v[66:67]
	v_mov_b32_e32 v78, v62
	v_mov_b32_e32 v79, v91
	;; [unrolled: 1-line block ×4, first 2 shown]
	v_pk_add_f32 v[70:71], v[102:103], v[96:97] neg_lo:[0,1] neg_hi:[0,1]
	v_pk_add_f32 v[68:69], v[90:91], v[34:35]
	v_pk_fma_f32 v[66:67], v[66:67], s[20:21], v[56:57] op_sel_hi:[1,0,1] neg_lo:[1,0,0] neg_hi:[1,0,0]
	v_pk_add_f32 v[78:79], v[78:79], v[94:95] neg_lo:[0,1] neg_hi:[0,1]
	global_store_dwordx2 v[74:75], v[56:57], off
	v_pk_add_f32 v[56:57], v[76:77], v[90:91]
	v_pk_mul_f32 v[70:71], v[70:71], s[2:3]
	v_pk_add_f32 v[92:93], v[72:73], v[64:65] neg_lo:[0,1] neg_hi:[0,1]
	v_mov_b32_e32 v63, v69
	v_pk_mul_f32 v[78:79], v[78:79], s[10:11]
	v_pk_add_f32 v[94:95], v[76:77], v[90:91] neg_lo:[0,1] neg_hi:[0,1]
	v_mov_b32_e32 v57, v77
	v_pk_fma_f32 v[68:69], v[92:93], s[6:7], v[70:71]
	v_pk_fma_f32 v[98:99], v[94:95], s[12:13], v[78:79]
	v_pk_add_f32 v[56:57], v[56:57], v[62:63]
	v_pk_add_f32 v[68:69], v[68:69], v[66:67]
	v_pk_fma_f32 v[74:75], v[56:57], s[8:9], v[98:99] op_sel_hi:[1,0,1]
	v_pk_mul_f32 v[94:95], v[94:95], s[12:13]
	v_pk_add_f32 v[98:99], v[68:69], v[74:75] neg_lo:[0,1] neg_hi:[0,1]
	v_pk_add_f32 v[68:69], v[68:69], v[74:75]
	v_mov_b32_e32 v75, v99
	v_mov_b32_e32 v74, v68
	global_store_dwordx2 v[80:81], v[74:75], off
	v_mad_u64_u32 v[74:75], s[18:19], s16, v30, 0
	v_mov_b32_e32 v24, v75
	v_mad_u64_u32 v[80:81], s[18:19], s17, v30, v[24:25]
	v_mov_b32_e32 v91, v104
	v_mov_b32_e32 v63, v77
	;; [unrolled: 1-line block ×4, first 2 shown]
	v_pk_mul_f32 v[92:93], v[92:93], s[6:7]
	v_pk_add_f32 v[62:63], v[90:91], v[62:63] neg_lo:[0,1] neg_hi:[0,1]
	s_mov_b32 s18, 0x3f5ff5aa
	v_mov_b32_e32 v76, v78
	v_mov_b32_e32 v77, v95
	;; [unrolled: 1-line block ×3, first 2 shown]
	v_add_u32_e32 v24, 56, v60
	v_pk_add_f32 v[64:65], v[64:65], v[102:103] neg_lo:[0,1] neg_hi:[0,1]
	v_mov_b32_e32 v96, v70
	v_mov_b32_e32 v97, v93
	s_mov_b32 s14, 0x3f3bfb3b
	v_pk_fma_f32 v[76:77], v[62:63], s[18:19], v[76:77] op_sel_hi:[1,0,1] neg_lo:[1,0,1] neg_hi:[1,0,1]
	v_pk_fma_f32 v[62:63], v[62:63], s[18:19], v[94:95] op_sel_hi:[1,0,1] neg_lo:[0,0,1] neg_hi:[0,0,1]
	v_mov_b32_e32 v93, v71
	v_mul_hi_u32 v30, v24, s15
	v_pk_fma_f32 v[96:97], v[64:65], s[14:15], v[96:97] op_sel_hi:[1,0,1] neg_lo:[1,0,1] neg_hi:[1,0,1]
	v_pk_fma_f32 v[76:77], v[56:57], s[8:9], v[76:77] op_sel_hi:[1,0,1]
	v_pk_fma_f32 v[56:57], v[56:57], s[8:9], v[62:63] op_sel_hi:[1,0,1]
	v_pk_fma_f32 v[62:63], v[64:65], s[14:15], v[92:93] op_sel_hi:[1,0,1] neg_lo:[0,0,1] neg_hi:[0,0,1]
	v_lshrrev_b32_e32 v30, 5, v30
	v_pk_add_f32 v[96:97], v[96:97], v[66:67]
	v_pk_add_f32 v[62:63], v[62:63], v[66:67]
	v_mul_lo_u32 v35, v30, s9
	v_pk_add_f32 v[90:91], v[96:97], v[76:77] neg_lo:[0,1] neg_hi:[0,1]
	v_pk_add_f32 v[76:77], v[96:97], v[76:77]
	v_pk_add_f32 v[64:65], v[62:63], v[56:57]
	v_pk_add_f32 v[56:57], v[62:63], v[56:57] neg_lo:[0,1] neg_hi:[0,1]
	v_sub_u32_e32 v24, v24, v35
	s_movk_i32 s15, 0x3f0
	v_lshl_add_u64 v[82:83], v[82:83], 3, v[12:13]
	v_lshl_add_u64 v[84:85], v[84:85], 3, v[12:13]
	v_mov_b32_e32 v96, v76
	v_mov_b32_e32 v97, v91
	;; [unrolled: 1-line block ×5, first 2 shown]
	v_mad_u64_u32 v[56:57], s[22:23], v30, s15, v[24:25]
	global_store_dwordx2 v[82:83], v[96:97], off
	global_store_dwordx2 v[84:85], v[62:63], off
	v_mad_u64_u32 v[62:63], s[22:23], s16, v56, 0
	v_lshl_add_u64 v[86:87], v[86:87], 3, v[12:13]
	v_mov_b32_e32 v24, v63
	global_store_dwordx2 v[86:87], v[64:65], off
	v_mad_u64_u32 v[64:65], s[22:23], s17, v56, v[24:25]
	v_add_u32_e32 v30, 0x90, v56
	v_mov_b32_e32 v63, v64
	v_mad_u64_u32 v[64:65], s[22:23], s16, v30, 0
	v_mov_b32_e32 v24, v65
	v_mad_u64_u32 v[66:67], s[22:23], s17, v30, v[24:25]
	v_add_u32_e32 v30, 0x120, v56
	v_mov_b32_e32 v65, v66
	v_mad_u64_u32 v[66:67], s[22:23], s16, v30, 0
	v_mov_b32_e32 v24, v67
	v_mad_u64_u32 v[70:71], s[22:23], s17, v30, v[24:25]
	v_add_u32_e32 v30, 0x1b0, v56
	v_mov_b32_e32 v75, v80
	v_mov_b32_e32 v67, v70
	v_mad_u64_u32 v[70:71], s[22:23], s16, v30, 0
	v_lshl_add_u64 v[88:89], v[88:89], 3, v[12:13]
	v_lshl_add_u64 v[74:75], v[74:75], 3, v[12:13]
	v_mov_b32_e32 v91, v77
	v_mov_b32_e32 v99, v69
	;; [unrolled: 1-line block ×3, first 2 shown]
	global_store_dwordx2 v[88:89], v[90:91], off
	global_store_dwordx2 v[74:75], v[98:99], off
	v_mad_u64_u32 v[74:75], s[22:23], s17, v30, v[24:25]
	v_add_u32_e32 v30, 0x240, v56
	v_mov_b32_e32 v71, v74
	v_mad_u64_u32 v[74:75], s[22:23], s16, v30, 0
	v_mov_b32_e32 v24, v75
	v_mad_u64_u32 v[76:77], s[22:23], s17, v30, v[24:25]
	v_add_u32_e32 v30, 0x2d0, v56
	v_mov_b32_e32 v75, v76
	v_mad_u64_u32 v[76:77], s[22:23], s16, v30, 0
	v_mov_b32_e32 v24, v77
	v_mad_u64_u32 v[78:79], s[22:23], s17, v30, v[24:25]
	v_add_u32_e32 v30, 0x360, v56
	v_mad_u64_u32 v[56:57], s[22:23], s16, v30, 0
	v_mov_b32_e32 v24, v57
	v_mul_f32_e32 v58, v42, v9
	v_mov_b32_e32 v77, v78
	v_mad_u64_u32 v[78:79], s[22:23], s17, v30, v[24:25]
	v_mov_b32_e32 v55, v48
	v_mov_b32_e32 v82, v9
	;; [unrolled: 1-line block ×3, first 2 shown]
	v_fmac_f32_e32 v58, v54, v8
	v_mov_b32_e32 v57, v78
	v_mov_b32_e32 v43, v38
	;; [unrolled: 1-line block ×4, first 2 shown]
	v_pk_mul_f32 v[54:55], v[54:55], v[82:83]
	v_mul_f32_e32 v68, v40, v7
	v_pk_fma_f32 v[8:9], v[42:43], v[8:9], v[54:55] neg_lo:[0,0,1] neg_hi:[0,0,1]
	v_pk_fma_f32 v[42:43], v[42:43], v[78:79], v[54:55]
	v_mov_b32_e32 v53, v46
	v_mov_b32_e32 v78, v7
	v_mov_b32_e32 v79, v2
	v_fmac_f32_e32 v68, v52, v6
	v_mov_b32_e32 v41, v34
	v_mov_b32_e32 v54, v6
	;; [unrolled: 1-line block ×3, first 2 shown]
	v_pk_mul_f32 v[52:53], v[52:53], v[78:79]
	v_mov_b32_e32 v49, v22
	v_mov_b32_e32 v78, v1
	;; [unrolled: 1-line block ×3, first 2 shown]
	v_pk_fma_f32 v[6:7], v[40:41], v[6:7], v[52:53] neg_lo:[0,0,1] neg_hi:[0,0,1]
	v_pk_fma_f32 v[40:41], v[40:41], v[54:55], v[52:53]
	v_mov_b32_e32 v39, v17
	v_mov_b32_e32 v54, v0
	;; [unrolled: 1-line block ×3, first 2 shown]
	v_pk_mul_f32 v[10:11], v[48:49], v[78:79]
	v_mov_b32_e32 v47, v44
	v_pk_fma_f32 v[0:1], v[38:39], v[0:1], v[10:11] neg_lo:[0,0,1] neg_hi:[0,0,1]
	v_pk_fma_f32 v[10:11], v[38:39], v[54:55], v[10:11]
	v_mov_b32_e32 v38, v2
	v_mov_b32_e32 v2, v3
	;; [unrolled: 1-line block ×5, first 2 shown]
	v_pk_mul_f32 v[2:3], v[46:47], v[2:3]
	v_mov_b32_e32 v9, v43
	v_mov_b32_e32 v7, v41
	v_pk_fma_f32 v[4:5], v[34:35], v[38:39], v[2:3] neg_lo:[0,0,1] neg_hi:[0,0,1]
	v_pk_fma_f32 v[2:3], v[34:35], v[38:39], v[2:3]
	v_pk_add_f32 v[52:53], v[6:7], v[8:9] neg_lo:[0,1] neg_hi:[0,1]
	v_mov_b32_e32 v1, v11
	v_mov_b32_e32 v5, v3
	;; [unrolled: 1-line block ×4, first 2 shown]
	v_pk_add_f32 v[34:35], v[4:5], v[0:1]
	v_mov_b32_e32 v4, v11
	v_mov_b32_e32 v5, v0
	v_pk_add_f32 v[0:1], v[68:69], v[58:59] neg_lo:[0,1] neg_hi:[0,1]
	v_mov_b32_e32 v2, v3
	v_mov_b32_e32 v3, v52
	v_pk_add_f32 v[4:5], v[2:3], v[4:5] neg_lo:[0,1] neg_hi:[0,1]
	v_pk_add_f32 v[2:3], v[0:1], v[2:3]
	v_mov_b32_e32 v36, v41
	v_mov_b32_e32 v44, v43
	v_add_f32_e32 v81, v68, v58
	v_add_f32_e32 v72, v37, v45
	v_pk_add_f32 v[6:7], v[6:7], v[8:9]
	v_mov_b32_e32 v5, v3
	v_pk_add_f32 v[2:3], v[36:37], v[44:45] neg_lo:[0,1] neg_hi:[0,1]
	v_add_f32_e32 v39, v35, v81
	v_mov_b32_e32 v73, v7
	v_mov_b32_e32 v80, v34
	v_add_f32_e32 v54, v72, v6
	v_mov_b32_e32 v55, v7
	v_mov_b32_e32 v38, v34
	;; [unrolled: 1-line block ×6, first 2 shown]
	v_pk_add_f32 v[8:9], v[72:73], v[80:81] neg_lo:[0,1] neg_hi:[0,1]
	v_pk_add_f32 v[38:39], v[54:55], v[38:39]
	v_pk_add_f32 v[10:11], v[10:11], v[36:37] neg_lo:[0,1] neg_hi:[0,1]
	v_pk_add_f32 v[42:43], v[2:3], v[0:1]
	v_pk_mul_f32 v[8:9], v[8:9], s[2:3]
	v_pk_add_f32 v[46:47], v[34:35], v[6:7] neg_lo:[0,1] neg_hi:[0,1]
	v_pk_add_f32 v[32:33], v[32:33], v[38:39]
	v_pk_mul_f32 v[10:11], v[10:11], s[10:11]
	v_pk_add_f32 v[36:37], v[2:3], v[0:1] neg_lo:[0,1] neg_hi:[0,1]
	v_mov_b32_e32 v43, v3
	v_pk_mul_f32 v[48:49], v[46:47], s[6:7]
	v_pk_fma_f32 v[46:47], v[46:47], s[6:7], v[8:9]
	v_pk_fma_f32 v[38:39], v[38:39], s[20:21], v[32:33] op_sel_hi:[1,0,1] neg_lo:[1,0,0] neg_hi:[1,0,0]
	v_pk_mul_f32 v[40:41], v[36:37], s[12:13]
	v_pk_fma_f32 v[36:37], v[36:37], s[12:13], v[10:11]
	v_pk_add_f32 v[42:43], v[42:43], v[4:5]
	v_pk_add_f32 v[46:47], v[46:47], v[38:39]
	v_pk_fma_f32 v[36:37], v[42:43], s[8:9], v[36:37] op_sel_hi:[1,0,1]
	v_lshl_add_u64 v[62:63], v[62:63], 3, v[12:13]
	v_pk_add_f32 v[44:45], v[46:47], v[36:37] neg_lo:[0,1] neg_hi:[0,1]
	v_pk_add_f32 v[36:37], v[46:47], v[36:37]
	v_lshl_add_u64 v[64:65], v[64:65], 3, v[12:13]
	global_store_dwordx2 v[62:63], v[32:33], off
	v_mov_b32_e32 v32, v36
	v_mov_b32_e32 v33, v45
	v_mov_b32_e32 v7, v81
	v_mov_b32_e32 v73, v35
	v_mov_b32_e32 v1, v52
	v_mov_b32_e32 v5, v3
	global_store_dwordx2 v[64:65], v[32:33], off
	v_mov_b32_e32 v32, v8
	v_mov_b32_e32 v33, v49
	v_pk_add_f32 v[6:7], v[6:7], v[72:73] neg_lo:[0,1] neg_hi:[0,1]
	v_pk_add_f32 v[0:1], v[0:1], v[4:5] neg_lo:[0,1] neg_hi:[0,1]
	v_mov_b32_e32 v2, v10
	v_mov_b32_e32 v3, v41
	;; [unrolled: 1-line block ×4, first 2 shown]
	v_pk_fma_f32 v[32:33], v[6:7], s[14:15], v[32:33] op_sel_hi:[1,0,1] neg_lo:[1,0,1] neg_hi:[1,0,1]
	v_pk_fma_f32 v[2:3], v[0:1], s[18:19], v[2:3] op_sel_hi:[1,0,1] neg_lo:[1,0,1] neg_hi:[1,0,1]
	;; [unrolled: 1-line block ×4, first 2 shown]
	v_pk_fma_f32 v[0:1], v[42:43], s[8:9], v[0:1] op_sel_hi:[1,0,1]
	v_pk_add_f32 v[6:7], v[6:7], v[38:39]
	v_pk_add_f32 v[32:33], v[32:33], v[38:39]
	v_pk_fma_f32 v[2:3], v[42:43], s[8:9], v[2:3] op_sel_hi:[1,0,1]
	v_pk_add_f32 v[8:9], v[6:7], v[0:1]
	v_pk_add_f32 v[0:1], v[6:7], v[0:1] neg_lo:[0,1] neg_hi:[0,1]
	v_pk_add_f32 v[4:5], v[32:33], v[2:3] neg_lo:[0,1] neg_hi:[0,1]
	v_pk_add_f32 v[2:3], v[32:33], v[2:3]
	v_mov_b32_e32 v6, v0
	v_add_u32_e32 v0, 0x70, v60
	v_lshl_add_u64 v[66:67], v[66:67], 3, v[12:13]
	v_lshl_add_u64 v[70:71], v[70:71], 3, v[12:13]
	;; [unrolled: 1-line block ×5, first 2 shown]
	v_mov_b32_e32 v32, v2
	v_mov_b32_e32 v33, v5
	;; [unrolled: 1-line block ×6, first 2 shown]
	v_cmp_gt_u32_e32 vcc, s9, v0
	global_store_dwordx2 v[66:67], v[32:33], off
	global_store_dwordx2 v[70:71], v[6:7], off
	;; [unrolled: 1-line block ×5, first 2 shown]
	s_and_b64 exec, exec, vcc
	s_cbranch_execz .LBB0_24
; %bb.23:
	v_subrev_u32_e32 v1, 32, v60
	v_cndmask_b32_e64 v1, v1, v61, s[0:1]
	v_mul_i32_i24_e32 v50, 6, v1
	v_lshl_add_u64 v[10:11], v[50:51], 3, s[4:5]
	global_load_dwordx4 v[2:5], v[10:11], off offset:1136
	global_load_dwordx4 v[6:9], v[10:11], off offset:1152
	;; [unrolled: 1-line block ×3, first 2 shown]
	v_mov_b32_e32 v17, v19
	v_mov_b32_e32 v30, v29
	;; [unrolled: 1-line block ×5, first 2 shown]
	s_mov_b32 s0, 0xbf955555
	s_waitcnt vmcnt(2)
	v_mov_b32_e32 v36, v5
	s_waitcnt vmcnt(1)
	v_mov_b32_e32 v37, v6
	v_mov_b32_e32 v38, v9
	s_waitcnt vmcnt(0)
	v_mov_b32_e32 v39, v32
	v_mul_f32_e32 v40, v18, v3
	v_mul_f32_e32 v1, v31, v33
	v_mul_f32_e32 v42, v20, v35
	v_mul_f32_e32 v5, v25, v5
	v_mov_b32_e32 v48, v3
	v_mov_b32_e32 v49, v6
	;; [unrolled: 1-line block ×10, first 2 shown]
	v_fmac_f32_e32 v40, v26, v2
	v_fmac_f32_e32 v42, v28, v34
	v_fma_f32 v5, v16, v4, -v5
	v_pk_mul_f32 v[16:17], v[16:17], v[36:37]
	v_pk_mul_f32 v[26:27], v[26:27], v[48:49]
	v_fma_f32 v11, v23, v32, -v1
	v_pk_mul_f32 v[30:31], v[30:31], v[38:39]
	v_mov_b32_e32 v32, v8
	v_pk_mul_f32 v[28:29], v[28:29], v[50:51]
	v_pk_fma_f32 v[36:37], v[24:25], v[44:45], v[16:17] op_sel:[0,0,1] op_sel_hi:[1,1,0] neg_lo:[1,0,0] neg_hi:[1,0,0]
	v_pk_fma_f32 v[16:17], v[24:25], v[46:47], v[16:17] op_sel:[0,0,1] op_sel_hi:[1,1,0]
	v_pk_fma_f32 v[24:25], v[18:19], v[2:3], v[26:27] neg_lo:[0,0,1] neg_hi:[0,0,1]
	v_pk_fma_f32 v[2:3], v[18:19], v[2:3], v[26:27]
	v_pk_fma_f32 v[8:9], v[10:11], v[8:9], v[30:31] op_sel_hi:[0,1,1] neg_lo:[0,0,1] neg_hi:[0,0,1]
	v_pk_fma_f32 v[18:19], v[22:23], v[32:33], v[30:31]
	v_pk_fma_f32 v[22:23], v[20:21], v[6:7], v[28:29] neg_lo:[0,0,1] neg_hi:[0,0,1]
	v_pk_fma_f32 v[6:7], v[20:21], v[6:7], v[28:29]
	v_mov_b32_e32 v37, v17
	v_mov_b32_e32 v25, v3
	;; [unrolled: 1-line block ×12, first 2 shown]
	v_add_f32_e32 v2, v5, v11
	v_pk_add_f32 v[18:19], v[40:41], v[42:43] neg_lo:[0,1] neg_hi:[0,1]
	v_pk_add_f32 v[4:5], v[4:5], v[10:11] neg_lo:[0,1] neg_hi:[0,1]
	v_pk_add_f32 v[8:9], v[36:37], v[8:9]
	v_pk_add_f32 v[10:11], v[24:25], v[22:23]
	v_pk_add_f32 v[6:7], v[6:7], v[16:17] neg_lo:[0,1] neg_hi:[0,1]
	v_add_f32_e32 v35, v40, v42
	v_mov_b32_e32 v34, v8
	v_mov_b32_e32 v3, v11
	v_pk_add_f32 v[24:25], v[6:7], v[4:5]
	v_mov_b32_e32 v26, v6
	v_mov_b32_e32 v27, v19
	v_mov_b32_e32 v28, v4
	v_mov_b32_e32 v29, v7
	v_mov_b32_e32 v30, v18
	v_mov_b32_e32 v31, v7
	v_mov_b32_e32 v7, v5
	v_add_f32_e32 v16, v2, v10
	v_add_f32_e32 v21, v9, v35
	v_pk_add_f32 v[22:23], v[10:11], v[8:9] neg_lo:[0,1] neg_hi:[0,1]
	v_mov_b32_e32 v17, v11
	v_mov_b32_e32 v20, v8
	v_pk_add_f32 v[32:33], v[34:35], v[2:3] neg_lo:[0,1] neg_hi:[0,1]
	v_pk_add_f32 v[26:27], v[26:27], v[28:29] neg_lo:[0,1] neg_hi:[0,1]
	;; [unrolled: 1-line block ×3, first 2 shown]
	v_pk_add_f32 v[16:17], v[16:17], v[20:21]
	v_pk_add_f32 v[20:21], v[24:25], v[18:19]
	v_pk_mul_f32 v[24:25], v[22:23], s[2:3]
	v_pk_mul_f32 v[28:29], v[32:33], s[6:7]
	;; [unrolled: 1-line block ×4, first 2 shown]
	v_mov_b32_e32 v3, v9
	v_mov_b32_e32 v11, v35
	v_pk_add_f32 v[14:15], v[14:15], v[16:17]
	v_pk_fma_f32 v[22:23], v[22:23], s[2:3], v[28:29]
	v_pk_fma_f32 v[6:7], v[6:7], s[10:11], v[26:27]
	v_pk_add_f32 v[2:3], v[2:3], v[10:11] neg_lo:[0,1] neg_hi:[0,1]
	v_pk_add_f32 v[4:5], v[4:5], v[18:19] neg_lo:[0,1] neg_hi:[0,1]
	v_mov_b32_e32 v8, v24
	v_mov_b32_e32 v9, v29
	;; [unrolled: 1-line block ×6, first 2 shown]
	v_pk_fma_f32 v[16:17], v[16:17], s[0:1], v[14:15] op_sel_hi:[1,0,1]
	v_pk_fma_f32 v[8:9], v[2:3], s[14:15], v[8:9] op_sel_hi:[1,0,1] neg_lo:[1,0,1] neg_hi:[1,0,1]
	v_pk_fma_f32 v[10:11], v[4:5], s[18:19], v[10:11] op_sel_hi:[1,0,1] neg_lo:[1,0,1] neg_hi:[1,0,1]
	;; [unrolled: 1-line block ×4, first 2 shown]
	v_pk_add_f32 v[8:9], v[8:9], v[16:17]
	v_pk_add_f32 v[2:3], v[2:3], v[16:17]
	v_pk_fma_f32 v[4:5], v[20:21], s[8:9], v[4:5] op_sel_hi:[1,0,1]
	v_pk_fma_f32 v[10:11], v[20:21], s[8:9], v[10:11] op_sel_hi:[1,0,1]
	v_pk_fma_f32 v[6:7], v[20:21], s[8:9], v[6:7] op_sel_hi:[1,0,1]
	v_pk_add_f32 v[18:19], v[8:9], v[10:11]
	v_pk_add_f32 v[8:9], v[8:9], v[10:11] neg_lo:[0,1] neg_hi:[0,1]
	v_pk_add_f32 v[10:11], v[2:3], v[4:5] neg_lo:[0,1] neg_hi:[0,1]
	v_pk_add_f32 v[2:3], v[2:3], v[4:5]
	v_mad_u64_u32 v[4:5], s[0:1], s16, v0, 0
	v_mov_b32_e32 v20, v5
	v_mad_u64_u32 v[0:1], s[0:1], s17, v0, v[20:21]
	v_mov_b32_e32 v5, v0
	v_lshl_add_u64 v[0:1], v[4:5], 3, v[12:13]
	v_add_u32_e32 v5, 0x100, v60
	global_store_dwordx2 v[0:1], v[14:15], off
	v_mad_u64_u32 v[0:1], s[0:1], s16, v5, 0
	v_mov_b32_e32 v4, v1
	v_pk_add_f32 v[22:23], v[22:23], v[16:17]
	v_mad_u64_u32 v[4:5], s[0:1], s17, v5, v[4:5]
	v_pk_add_f32 v[16:17], v[22:23], v[6:7]
	v_pk_add_f32 v[6:7], v[22:23], v[6:7] neg_lo:[0,1] neg_hi:[0,1]
	v_mov_b32_e32 v1, v4
	v_lshl_add_u64 v[0:1], v[0:1], 3, v[12:13]
	v_mov_b32_e32 v4, v16
	v_mov_b32_e32 v5, v7
	global_store_dwordx2 v[0:1], v[4:5], off
	v_add_u32_e32 v5, 0x190, v60
	v_mad_u64_u32 v[0:1], s[0:1], s16, v5, 0
	v_mov_b32_e32 v4, v1
	v_mad_u64_u32 v[4:5], s[0:1], s17, v5, v[4:5]
	v_mov_b32_e32 v1, v4
	v_lshl_add_u64 v[0:1], v[0:1], 3, v[12:13]
	v_mov_b32_e32 v4, v18
	v_mov_b32_e32 v5, v9
	global_store_dwordx2 v[0:1], v[4:5], off
	v_add_u32_e32 v5, 0x220, v60
	v_mad_u64_u32 v[0:1], s[0:1], s16, v5, 0
	v_mov_b32_e32 v4, v1
	v_mad_u64_u32 v[4:5], s[0:1], s17, v5, v[4:5]
	v_mov_b32_e32 v1, v4
	v_lshl_add_u64 v[0:1], v[0:1], 3, v[12:13]
	v_mov_b32_e32 v4, v10
	v_mov_b32_e32 v5, v3
	v_add_u32_e32 v3, 0x2b0, v60
	global_store_dwordx2 v[0:1], v[4:5], off
	v_mad_u64_u32 v[0:1], s[0:1], s16, v3, 0
	v_mov_b32_e32 v4, v1
	v_mad_u64_u32 v[4:5], s[0:1], s17, v3, v[4:5]
	v_mov_b32_e32 v1, v4
	v_lshl_add_u64 v[0:1], v[0:1], 3, v[12:13]
	v_mov_b32_e32 v3, v11
	global_store_dwordx2 v[0:1], v[2:3], off
	v_add_u32_e32 v3, 0x340, v60
	v_mad_u64_u32 v[0:1], s[0:1], s16, v3, 0
	v_mov_b32_e32 v2, v1
	v_mad_u64_u32 v[2:3], s[0:1], s17, v3, v[2:3]
	v_mov_b32_e32 v1, v2
	v_lshl_add_u64 v[0:1], v[0:1], 3, v[12:13]
	v_mov_b32_e32 v9, v19
	v_add_u32_e32 v3, 0x3d0, v60
	global_store_dwordx2 v[0:1], v[8:9], off
	v_mad_u64_u32 v[0:1], s[0:1], s16, v3, 0
	v_mov_b32_e32 v2, v1
	v_mad_u64_u32 v[2:3], s[0:1], s17, v3, v[2:3]
	v_mov_b32_e32 v1, v2
	v_lshl_add_u64 v[0:1], v[0:1], 3, v[12:13]
	v_mov_b32_e32 v7, v17
	global_store_dwordx2 v[0:1], v[6:7], off
	s_endpgm
.LBB0_24:
	s_endpgm
	.section	.rodata,"a",@progbits
	.p2align	6, 0x0
	.amdhsa_kernel fft_rtc_fwd_len1008_factors_2_2_2_2_3_3_7_wgs_56_tpt_56_halfLds_sp_op_CI_CI_sbrr_dirReg
		.amdhsa_group_segment_fixed_size 0
		.amdhsa_private_segment_fixed_size 0
		.amdhsa_kernarg_size 104
		.amdhsa_user_sgpr_count 2
		.amdhsa_user_sgpr_dispatch_ptr 0
		.amdhsa_user_sgpr_queue_ptr 0
		.amdhsa_user_sgpr_kernarg_segment_ptr 1
		.amdhsa_user_sgpr_dispatch_id 0
		.amdhsa_user_sgpr_kernarg_preload_length 0
		.amdhsa_user_sgpr_kernarg_preload_offset 0
		.amdhsa_user_sgpr_private_segment_size 0
		.amdhsa_uses_dynamic_stack 0
		.amdhsa_enable_private_segment 0
		.amdhsa_system_sgpr_workgroup_id_x 1
		.amdhsa_system_sgpr_workgroup_id_y 0
		.amdhsa_system_sgpr_workgroup_id_z 0
		.amdhsa_system_sgpr_workgroup_info 0
		.amdhsa_system_vgpr_workitem_id 0
		.amdhsa_next_free_vgpr 108
		.amdhsa_next_free_sgpr 32
		.amdhsa_accum_offset 108
		.amdhsa_reserve_vcc 1
		.amdhsa_float_round_mode_32 0
		.amdhsa_float_round_mode_16_64 0
		.amdhsa_float_denorm_mode_32 3
		.amdhsa_float_denorm_mode_16_64 3
		.amdhsa_dx10_clamp 1
		.amdhsa_ieee_mode 1
		.amdhsa_fp16_overflow 0
		.amdhsa_tg_split 0
		.amdhsa_exception_fp_ieee_invalid_op 0
		.amdhsa_exception_fp_denorm_src 0
		.amdhsa_exception_fp_ieee_div_zero 0
		.amdhsa_exception_fp_ieee_overflow 0
		.amdhsa_exception_fp_ieee_underflow 0
		.amdhsa_exception_fp_ieee_inexact 0
		.amdhsa_exception_int_div_zero 0
	.end_amdhsa_kernel
	.text
.Lfunc_end0:
	.size	fft_rtc_fwd_len1008_factors_2_2_2_2_3_3_7_wgs_56_tpt_56_halfLds_sp_op_CI_CI_sbrr_dirReg, .Lfunc_end0-fft_rtc_fwd_len1008_factors_2_2_2_2_3_3_7_wgs_56_tpt_56_halfLds_sp_op_CI_CI_sbrr_dirReg
                                        ; -- End function
	.section	.AMDGPU.csdata,"",@progbits
; Kernel info:
; codeLenInByte = 12832
; NumSgprs: 38
; NumVgprs: 108
; NumAgprs: 0
; TotalNumVgprs: 108
; ScratchSize: 0
; MemoryBound: 0
; FloatMode: 240
; IeeeMode: 1
; LDSByteSize: 0 bytes/workgroup (compile time only)
; SGPRBlocks: 4
; VGPRBlocks: 13
; NumSGPRsForWavesPerEU: 38
; NumVGPRsForWavesPerEU: 108
; AccumOffset: 108
; Occupancy: 4
; WaveLimiterHint : 1
; COMPUTE_PGM_RSRC2:SCRATCH_EN: 0
; COMPUTE_PGM_RSRC2:USER_SGPR: 2
; COMPUTE_PGM_RSRC2:TRAP_HANDLER: 0
; COMPUTE_PGM_RSRC2:TGID_X_EN: 1
; COMPUTE_PGM_RSRC2:TGID_Y_EN: 0
; COMPUTE_PGM_RSRC2:TGID_Z_EN: 0
; COMPUTE_PGM_RSRC2:TIDIG_COMP_CNT: 0
; COMPUTE_PGM_RSRC3_GFX90A:ACCUM_OFFSET: 26
; COMPUTE_PGM_RSRC3_GFX90A:TG_SPLIT: 0
	.text
	.p2alignl 6, 3212836864
	.fill 256, 4, 3212836864
	.type	__hip_cuid_24f8f588be7e9ccd,@object ; @__hip_cuid_24f8f588be7e9ccd
	.section	.bss,"aw",@nobits
	.globl	__hip_cuid_24f8f588be7e9ccd
__hip_cuid_24f8f588be7e9ccd:
	.byte	0                               ; 0x0
	.size	__hip_cuid_24f8f588be7e9ccd, 1

	.ident	"AMD clang version 19.0.0git (https://github.com/RadeonOpenCompute/llvm-project roc-6.4.0 25133 c7fe45cf4b819c5991fe208aaa96edf142730f1d)"
	.section	".note.GNU-stack","",@progbits
	.addrsig
	.addrsig_sym __hip_cuid_24f8f588be7e9ccd
	.amdgpu_metadata
---
amdhsa.kernels:
  - .agpr_count:     0
    .args:
      - .actual_access:  read_only
        .address_space:  global
        .offset:         0
        .size:           8
        .value_kind:     global_buffer
      - .offset:         8
        .size:           8
        .value_kind:     by_value
      - .actual_access:  read_only
        .address_space:  global
        .offset:         16
        .size:           8
        .value_kind:     global_buffer
      - .actual_access:  read_only
        .address_space:  global
        .offset:         24
        .size:           8
        .value_kind:     global_buffer
      - .actual_access:  read_only
        .address_space:  global
        .offset:         32
        .size:           8
        .value_kind:     global_buffer
      - .offset:         40
        .size:           8
        .value_kind:     by_value
      - .actual_access:  read_only
        .address_space:  global
        .offset:         48
        .size:           8
        .value_kind:     global_buffer
      - .actual_access:  read_only
        .address_space:  global
        .offset:         56
        .size:           8
        .value_kind:     global_buffer
      - .offset:         64
        .size:           4
        .value_kind:     by_value
      - .actual_access:  read_only
        .address_space:  global
        .offset:         72
        .size:           8
        .value_kind:     global_buffer
      - .actual_access:  read_only
        .address_space:  global
        .offset:         80
        .size:           8
        .value_kind:     global_buffer
      - .actual_access:  read_only
        .address_space:  global
        .offset:         88
        .size:           8
        .value_kind:     global_buffer
      - .actual_access:  write_only
        .address_space:  global
        .offset:         96
        .size:           8
        .value_kind:     global_buffer
    .group_segment_fixed_size: 0
    .kernarg_segment_align: 8
    .kernarg_segment_size: 104
    .language:       OpenCL C
    .language_version:
      - 2
      - 0
    .max_flat_workgroup_size: 56
    .name:           fft_rtc_fwd_len1008_factors_2_2_2_2_3_3_7_wgs_56_tpt_56_halfLds_sp_op_CI_CI_sbrr_dirReg
    .private_segment_fixed_size: 0
    .sgpr_count:     38
    .sgpr_spill_count: 0
    .symbol:         fft_rtc_fwd_len1008_factors_2_2_2_2_3_3_7_wgs_56_tpt_56_halfLds_sp_op_CI_CI_sbrr_dirReg.kd
    .uniform_work_group_size: 1
    .uses_dynamic_stack: false
    .vgpr_count:     108
    .vgpr_spill_count: 0
    .wavefront_size: 64
amdhsa.target:   amdgcn-amd-amdhsa--gfx950
amdhsa.version:
  - 1
  - 2
...

	.end_amdgpu_metadata
